;; amdgpu-corpus repo=ROCm/rocFFT kind=compiled arch=gfx906 opt=O3
	.text
	.amdgcn_target "amdgcn-amd-amdhsa--gfx906"
	.amdhsa_code_object_version 6
	.protected	fft_rtc_fwd_len3750_factors_3_5_5_10_5_wgs_125_tpt_125_halfLds_dp_ip_CI_unitstride_sbrr_C2R_dirReg ; -- Begin function fft_rtc_fwd_len3750_factors_3_5_5_10_5_wgs_125_tpt_125_halfLds_dp_ip_CI_unitstride_sbrr_C2R_dirReg
	.globl	fft_rtc_fwd_len3750_factors_3_5_5_10_5_wgs_125_tpt_125_halfLds_dp_ip_CI_unitstride_sbrr_C2R_dirReg
	.p2align	8
	.type	fft_rtc_fwd_len3750_factors_3_5_5_10_5_wgs_125_tpt_125_halfLds_dp_ip_CI_unitstride_sbrr_C2R_dirReg,@function
fft_rtc_fwd_len3750_factors_3_5_5_10_5_wgs_125_tpt_125_halfLds_dp_ip_CI_unitstride_sbrr_C2R_dirReg: ; @fft_rtc_fwd_len3750_factors_3_5_5_10_5_wgs_125_tpt_125_halfLds_dp_ip_CI_unitstride_sbrr_C2R_dirReg
; %bb.0:
	s_load_dwordx2 s[2:3], s[4:5], 0x50
	s_load_dwordx4 s[8:11], s[4:5], 0x0
	s_load_dwordx2 s[12:13], s[4:5], 0x18
	v_mul_u32_u24_e32 v1, 0x20d, v0
	v_add_u32_sdwa v5, s6, v1 dst_sel:DWORD dst_unused:UNUSED_PAD src0_sel:DWORD src1_sel:WORD_1
	v_mov_b32_e32 v3, 0
	s_waitcnt lgkmcnt(0)
	v_cmp_lt_u64_e64 s[0:1], s[10:11], 2
	v_mov_b32_e32 v1, 0
	v_mov_b32_e32 v6, v3
	s_and_b64 vcc, exec, s[0:1]
	v_mov_b32_e32 v2, 0
	s_cbranch_vccnz .LBB0_8
; %bb.1:
	s_load_dwordx2 s[0:1], s[4:5], 0x10
	s_add_u32 s6, s12, 8
	s_addc_u32 s7, s13, 0
	v_mov_b32_e32 v1, 0
	v_mov_b32_e32 v2, 0
	s_waitcnt lgkmcnt(0)
	s_add_u32 s14, s0, 8
	s_addc_u32 s15, s1, 0
	s_mov_b64 s[16:17], 1
.LBB0_2:                                ; =>This Inner Loop Header: Depth=1
	s_load_dwordx2 s[18:19], s[14:15], 0x0
                                        ; implicit-def: $vgpr7_vgpr8
	s_waitcnt lgkmcnt(0)
	v_or_b32_e32 v4, s19, v6
	v_cmp_ne_u64_e32 vcc, 0, v[3:4]
	s_and_saveexec_b64 s[0:1], vcc
	s_xor_b64 s[20:21], exec, s[0:1]
	s_cbranch_execz .LBB0_4
; %bb.3:                                ;   in Loop: Header=BB0_2 Depth=1
	v_cvt_f32_u32_e32 v4, s18
	v_cvt_f32_u32_e32 v7, s19
	s_sub_u32 s0, 0, s18
	s_subb_u32 s1, 0, s19
	v_mac_f32_e32 v4, 0x4f800000, v7
	v_rcp_f32_e32 v4, v4
	v_mul_f32_e32 v4, 0x5f7ffffc, v4
	v_mul_f32_e32 v7, 0x2f800000, v4
	v_trunc_f32_e32 v7, v7
	v_mac_f32_e32 v4, 0xcf800000, v7
	v_cvt_u32_f32_e32 v7, v7
	v_cvt_u32_f32_e32 v4, v4
	v_mul_lo_u32 v8, s0, v7
	v_mul_hi_u32 v9, s0, v4
	v_mul_lo_u32 v11, s1, v4
	v_mul_lo_u32 v10, s0, v4
	v_add_u32_e32 v8, v9, v8
	v_add_u32_e32 v8, v8, v11
	v_mul_hi_u32 v9, v4, v10
	v_mul_lo_u32 v11, v4, v8
	v_mul_hi_u32 v13, v4, v8
	v_mul_hi_u32 v12, v7, v10
	v_mul_lo_u32 v10, v7, v10
	v_mul_hi_u32 v14, v7, v8
	v_add_co_u32_e32 v9, vcc, v9, v11
	v_addc_co_u32_e32 v11, vcc, 0, v13, vcc
	v_mul_lo_u32 v8, v7, v8
	v_add_co_u32_e32 v9, vcc, v9, v10
	v_addc_co_u32_e32 v9, vcc, v11, v12, vcc
	v_addc_co_u32_e32 v10, vcc, 0, v14, vcc
	v_add_co_u32_e32 v8, vcc, v9, v8
	v_addc_co_u32_e32 v9, vcc, 0, v10, vcc
	v_add_co_u32_e32 v4, vcc, v4, v8
	v_addc_co_u32_e32 v7, vcc, v7, v9, vcc
	v_mul_lo_u32 v8, s0, v7
	v_mul_hi_u32 v9, s0, v4
	v_mul_lo_u32 v10, s1, v4
	v_mul_lo_u32 v11, s0, v4
	v_add_u32_e32 v8, v9, v8
	v_add_u32_e32 v8, v8, v10
	v_mul_lo_u32 v12, v4, v8
	v_mul_hi_u32 v13, v4, v11
	v_mul_hi_u32 v14, v4, v8
	;; [unrolled: 1-line block ×3, first 2 shown]
	v_mul_lo_u32 v11, v7, v11
	v_mul_hi_u32 v9, v7, v8
	v_add_co_u32_e32 v12, vcc, v13, v12
	v_addc_co_u32_e32 v13, vcc, 0, v14, vcc
	v_mul_lo_u32 v8, v7, v8
	v_add_co_u32_e32 v11, vcc, v12, v11
	v_addc_co_u32_e32 v10, vcc, v13, v10, vcc
	v_addc_co_u32_e32 v9, vcc, 0, v9, vcc
	v_add_co_u32_e32 v8, vcc, v10, v8
	v_addc_co_u32_e32 v9, vcc, 0, v9, vcc
	v_add_co_u32_e32 v4, vcc, v4, v8
	v_addc_co_u32_e32 v9, vcc, v7, v9, vcc
	v_mad_u64_u32 v[7:8], s[0:1], v5, v9, 0
	v_mul_hi_u32 v10, v5, v4
	v_add_co_u32_e32 v11, vcc, v10, v7
	v_addc_co_u32_e32 v12, vcc, 0, v8, vcc
	v_mad_u64_u32 v[7:8], s[0:1], v6, v4, 0
	v_mad_u64_u32 v[9:10], s[0:1], v6, v9, 0
	v_add_co_u32_e32 v4, vcc, v11, v7
	v_addc_co_u32_e32 v4, vcc, v12, v8, vcc
	v_addc_co_u32_e32 v7, vcc, 0, v10, vcc
	v_add_co_u32_e32 v4, vcc, v4, v9
	v_addc_co_u32_e32 v9, vcc, 0, v7, vcc
	v_mul_lo_u32 v10, s19, v4
	v_mul_lo_u32 v11, s18, v9
	v_mad_u64_u32 v[7:8], s[0:1], s18, v4, 0
	v_add3_u32 v8, v8, v11, v10
	v_sub_u32_e32 v10, v6, v8
	v_mov_b32_e32 v11, s19
	v_sub_co_u32_e32 v7, vcc, v5, v7
	v_subb_co_u32_e64 v10, s[0:1], v10, v11, vcc
	v_subrev_co_u32_e64 v11, s[0:1], s18, v7
	v_subbrev_co_u32_e64 v10, s[0:1], 0, v10, s[0:1]
	v_cmp_le_u32_e64 s[0:1], s19, v10
	v_cndmask_b32_e64 v12, 0, -1, s[0:1]
	v_cmp_le_u32_e64 s[0:1], s18, v11
	v_cndmask_b32_e64 v11, 0, -1, s[0:1]
	v_cmp_eq_u32_e64 s[0:1], s19, v10
	v_cndmask_b32_e64 v10, v12, v11, s[0:1]
	v_add_co_u32_e64 v11, s[0:1], 2, v4
	v_addc_co_u32_e64 v12, s[0:1], 0, v9, s[0:1]
	v_add_co_u32_e64 v13, s[0:1], 1, v4
	v_addc_co_u32_e64 v14, s[0:1], 0, v9, s[0:1]
	v_subb_co_u32_e32 v8, vcc, v6, v8, vcc
	v_cmp_ne_u32_e64 s[0:1], 0, v10
	v_cmp_le_u32_e32 vcc, s19, v8
	v_cndmask_b32_e64 v10, v14, v12, s[0:1]
	v_cndmask_b32_e64 v12, 0, -1, vcc
	v_cmp_le_u32_e32 vcc, s18, v7
	v_cndmask_b32_e64 v7, 0, -1, vcc
	v_cmp_eq_u32_e32 vcc, s19, v8
	v_cndmask_b32_e32 v7, v12, v7, vcc
	v_cmp_ne_u32_e32 vcc, 0, v7
	v_cndmask_b32_e64 v7, v13, v11, s[0:1]
	v_cndmask_b32_e32 v8, v9, v10, vcc
	v_cndmask_b32_e32 v7, v4, v7, vcc
.LBB0_4:                                ;   in Loop: Header=BB0_2 Depth=1
	s_andn2_saveexec_b64 s[0:1], s[20:21]
	s_cbranch_execz .LBB0_6
; %bb.5:                                ;   in Loop: Header=BB0_2 Depth=1
	v_cvt_f32_u32_e32 v4, s18
	s_sub_i32 s20, 0, s18
	v_rcp_iflag_f32_e32 v4, v4
	v_mul_f32_e32 v4, 0x4f7ffffe, v4
	v_cvt_u32_f32_e32 v4, v4
	v_mul_lo_u32 v7, s20, v4
	v_mul_hi_u32 v7, v4, v7
	v_add_u32_e32 v4, v4, v7
	v_mul_hi_u32 v4, v5, v4
	v_mul_lo_u32 v7, v4, s18
	v_add_u32_e32 v8, 1, v4
	v_sub_u32_e32 v7, v5, v7
	v_subrev_u32_e32 v9, s18, v7
	v_cmp_le_u32_e32 vcc, s18, v7
	v_cndmask_b32_e32 v7, v7, v9, vcc
	v_cndmask_b32_e32 v4, v4, v8, vcc
	v_add_u32_e32 v8, 1, v4
	v_cmp_le_u32_e32 vcc, s18, v7
	v_cndmask_b32_e32 v7, v4, v8, vcc
	v_mov_b32_e32 v8, v3
.LBB0_6:                                ;   in Loop: Header=BB0_2 Depth=1
	s_or_b64 exec, exec, s[0:1]
	v_mul_lo_u32 v4, v8, s18
	v_mul_lo_u32 v11, v7, s19
	v_mad_u64_u32 v[9:10], s[0:1], v7, s18, 0
	s_load_dwordx2 s[0:1], s[6:7], 0x0
	s_add_u32 s16, s16, 1
	v_add3_u32 v4, v10, v11, v4
	v_sub_co_u32_e32 v5, vcc, v5, v9
	v_subb_co_u32_e32 v4, vcc, v6, v4, vcc
	s_waitcnt lgkmcnt(0)
	v_mul_lo_u32 v4, s0, v4
	v_mul_lo_u32 v6, s1, v5
	v_mad_u64_u32 v[1:2], s[0:1], s0, v5, v[1:2]
	s_addc_u32 s17, s17, 0
	s_add_u32 s6, s6, 8
	v_add3_u32 v2, v6, v2, v4
	v_mov_b32_e32 v4, s10
	v_mov_b32_e32 v5, s11
	s_addc_u32 s7, s7, 0
	v_cmp_ge_u64_e32 vcc, s[16:17], v[4:5]
	s_add_u32 s14, s14, 8
	s_addc_u32 s15, s15, 0
	s_cbranch_vccnz .LBB0_9
; %bb.7:                                ;   in Loop: Header=BB0_2 Depth=1
	v_mov_b32_e32 v5, v7
	v_mov_b32_e32 v6, v8
	s_branch .LBB0_2
.LBB0_8:
	v_mov_b32_e32 v8, v6
	v_mov_b32_e32 v7, v5
.LBB0_9:
	s_lshl_b64 s[0:1], s[10:11], 3
	s_add_u32 s0, s12, s0
	s_addc_u32 s1, s13, s1
	s_load_dwordx2 s[6:7], s[0:1], 0x0
	s_load_dwordx2 s[10:11], s[4:5], 0x20
	s_waitcnt lgkmcnt(0)
	v_mad_u64_u32 v[1:2], s[0:1], s6, v7, v[1:2]
	v_mul_lo_u32 v3, s6, v8
	v_mul_lo_u32 v4, s7, v7
	s_mov_b32 s0, 0x20c49bb
	v_mul_hi_u32 v5, v0, s0
	v_cmp_gt_u64_e64 s[0:1], s[10:11], v[7:8]
	v_add3_u32 v2, v4, v2, v3
	v_lshlrev_b64 v[162:163], 4, v[1:2]
	v_mul_u32_u24_e32 v3, 0x7d, v5
	v_sub_u32_e32 v160, v0, v3
	s_and_saveexec_b64 s[4:5], s[0:1]
	s_cbranch_execz .LBB0_13
; %bb.10:
	v_mov_b32_e32 v161, 0
	v_mov_b32_e32 v0, s3
	v_add_co_u32_e32 v1, vcc, s2, v162
	v_lshlrev_b64 v[2:3], 4, v[160:161]
	v_addc_co_u32_e32 v0, vcc, v0, v163, vcc
	v_add_co_u32_e32 v114, vcc, v1, v2
	v_addc_co_u32_e32 v115, vcc, v0, v3, vcc
	s_movk_i32 s6, 0x1000
	v_add_co_u32_e32 v26, vcc, s6, v114
	v_addc_co_u32_e32 v27, vcc, 0, v115, vcc
	s_movk_i32 s6, 0x2000
	v_add_co_u32_e32 v34, vcc, s6, v114
	s_movk_i32 s7, 0x3000
	v_addc_co_u32_e32 v35, vcc, 0, v115, vcc
	v_add_co_u32_e32 v42, vcc, s7, v114
	v_addc_co_u32_e32 v43, vcc, 0, v115, vcc
	s_movk_i32 s6, 0x4000
	v_add_co_u32_e32 v50, vcc, s6, v114
	s_movk_i32 s7, 0x5000
	v_addc_co_u32_e32 v51, vcc, 0, v115, vcc
	;; [unrolled: 6-line block ×3, first 2 shown]
	v_add_co_u32_e32 v74, vcc, s7, v114
	v_addc_co_u32_e32 v75, vcc, 0, v115, vcc
	s_mov_b32 s6, 0x8000
	v_add_co_u32_e32 v82, vcc, s6, v114
	v_addc_co_u32_e32 v83, vcc, 0, v115, vcc
	s_mov_b32 s6, 0x9000
	;; [unrolled: 3-line block ×6, first 2 shown]
	v_add_co_u32_e32 v118, vcc, s6, v114
	v_addc_co_u32_e32 v119, vcc, 0, v115, vcc
	v_add_co_u32_e32 v120, vcc, 0xe000, v114
	v_addc_co_u32_e32 v121, vcc, 0, v115, vcc
	global_load_dwordx4 v[2:5], v[114:115], off
	global_load_dwordx4 v[6:9], v[114:115], off offset:2000
	global_load_dwordx4 v[10:13], v[114:115], off offset:4000
	;; [unrolled: 1-line block ×5, first 2 shown]
	s_nop 0
	global_load_dwordx4 v[26:29], v[34:35], off offset:3808
	global_load_dwordx4 v[30:33], v[42:43], off offset:1712
	s_nop 0
	global_load_dwordx4 v[34:37], v[42:43], off offset:3712
	global_load_dwordx4 v[38:41], v[50:51], off offset:1616
	;; [unrolled: 3-line block ×4, first 2 shown]
	global_load_dwordx4 v[58:61], v[68:69], off offset:3424
	global_load_dwordx4 v[62:65], v[74:75], off offset:1328
	s_nop 0
	global_load_dwordx4 v[66:69], v[74:75], off offset:3328
	global_load_dwordx4 v[70:73], v[82:83], off offset:1232
	s_nop 0
	global_load_dwordx4 v[74:77], v[82:83], off offset:3232
	global_load_dwordx4 v[78:81], v[90:91], off offset:1136
	s_nop 0
	global_load_dwordx4 v[82:85], v[90:91], off offset:3136
	global_load_dwordx4 v[86:89], v[98:99], off offset:1040
	s_nop 0
	global_load_dwordx4 v[90:93], v[98:99], off offset:3040
	global_load_dwordx4 v[94:97], v[106:107], off offset:944
	s_nop 0
	global_load_dwordx4 v[98:101], v[106:107], off offset:2944
	global_load_dwordx4 v[102:105], v[116:117], off offset:848
	s_nop 0
	global_load_dwordx4 v[106:109], v[116:117], off offset:2848
	global_load_dwordx4 v[110:113], v[118:119], off offset:752
	s_nop 0
	global_load_dwordx4 v[114:117], v[118:119], off offset:2752
	s_nop 0
	global_load_dwordx4 v[118:121], v[120:121], off offset:656
	s_movk_i32 s6, 0x7c
	v_lshl_add_u32 v122, v160, 4, 0
	v_cmp_eq_u32_e32 vcc, s6, v160
	s_waitcnt vmcnt(29)
	ds_write_b128 v122, v[2:5]
	s_waitcnt vmcnt(28)
	ds_write_b128 v122, v[6:9] offset:2000
	s_waitcnt vmcnt(27)
	ds_write_b128 v122, v[10:13] offset:4000
	;; [unrolled: 2-line block ×29, first 2 shown]
	s_and_saveexec_b64 s[6:7], vcc
	s_cbranch_execz .LBB0_12
; %bb.11:
	v_add_co_u32_e32 v1, vcc, 0xe000, v1
	v_addc_co_u32_e32 v2, vcc, 0, v0, vcc
	global_load_dwordx4 v[0:3], v[1:2], off offset:2656
	v_mov_b32_e32 v160, 0x7c
	s_waitcnt vmcnt(0)
	ds_write_b128 v161, v[0:3] offset:60000
.LBB0_12:
	s_or_b64 exec, exec, s[6:7]
.LBB0_13:
	s_or_b64 exec, exec, s[4:5]
	v_lshlrev_b32_e32 v0, 4, v160
	v_add_u32_e32 v164, 0, v0
	s_waitcnt lgkmcnt(0)
	s_barrier
	v_sub_u32_e32 v12, 0, v0
	ds_read_b64 v[6:7], v164
	ds_read_b64 v[8:9], v12 offset:60000
	s_add_u32 s6, s8, 0xea30
	s_addc_u32 s7, s9, 0
	v_cmp_ne_u32_e32 vcc, 0, v160
                                        ; implicit-def: $vgpr4_vgpr5
	s_waitcnt lgkmcnt(0)
	v_add_f64 v[0:1], v[6:7], v[8:9]
	v_add_f64 v[2:3], v[6:7], -v[8:9]
	s_and_saveexec_b64 s[4:5], vcc
	s_xor_b64 s[4:5], exec, s[4:5]
	s_cbranch_execz .LBB0_15
; %bb.14:
	v_mov_b32_e32 v161, 0
	v_lshlrev_b64 v[0:1], 4, v[160:161]
	v_mov_b32_e32 v2, s7
	v_add_co_u32_e32 v0, vcc, s6, v0
	v_addc_co_u32_e32 v1, vcc, v2, v1, vcc
	global_load_dwordx4 v[2:5], v[0:1], off
	ds_read_b64 v[0:1], v12 offset:60008
	ds_read_b64 v[10:11], v164 offset:8
	v_add_f64 v[13:14], v[6:7], v[8:9]
	v_add_f64 v[8:9], v[6:7], -v[8:9]
	s_waitcnt lgkmcnt(0)
	v_add_f64 v[15:16], v[0:1], v[10:11]
	v_add_f64 v[0:1], v[10:11], -v[0:1]
	s_waitcnt vmcnt(0)
	v_fma_f64 v[6:7], -v[8:9], v[4:5], v[13:14]
	v_fma_f64 v[10:11], v[15:16], v[4:5], -v[0:1]
	v_fma_f64 v[13:14], v[8:9], v[4:5], v[13:14]
	v_fma_f64 v[17:18], v[15:16], v[4:5], v[0:1]
	;; [unrolled: 1-line block ×4, first 2 shown]
	v_fma_f64 v[0:1], -v[15:16], v[2:3], v[13:14]
	v_fma_f64 v[2:3], v[8:9], v[2:3], v[17:18]
	ds_write_b128 v12, v[4:7] offset:60000
	v_mov_b32_e32 v4, v160
	v_mov_b32_e32 v5, v161
.LBB0_15:
	s_andn2_saveexec_b64 s[4:5], s[4:5]
	s_cbranch_execz .LBB0_17
; %bb.16:
	v_mov_b32_e32 v13, 0
	ds_read_b128 v[4:7], v13 offset:30000
	s_waitcnt lgkmcnt(0)
	v_add_f64 v[8:9], v[4:5], v[4:5]
	v_mul_f64 v[10:11], v[6:7], -2.0
	v_mov_b32_e32 v4, 0
	v_mov_b32_e32 v5, 0
	ds_write_b128 v13, v[8:11] offset:30000
.LBB0_17:
	s_or_b64 exec, exec, s[4:5]
	v_lshlrev_b64 v[4:5], 4, v[4:5]
	v_mov_b32_e32 v6, s7
	v_add_co_u32_e32 v4, vcc, s6, v4
	v_addc_co_u32_e32 v5, vcc, v6, v5, vcc
	global_load_dwordx4 v[6:9], v[4:5], off offset:2000
	global_load_dwordx4 v[13:16], v[4:5], off offset:4000
	s_movk_i32 s4, 0x1000
	v_add_co_u32_e32 v25, vcc, s4, v4
	ds_write_b128 v164, v[0:3]
	v_addc_co_u32_e32 v26, vcc, 0, v5, vcc
	ds_read_b128 v[0:3], v164 offset:2000
	ds_read_b128 v[17:20], v12 offset:58000
	global_load_dwordx4 v[21:24], v[25:26], off offset:1904
	s_movk_i32 s18, 0x2000
	s_movk_i32 s4, 0x3000
	;; [unrolled: 1-line block ×3, first 2 shown]
	s_waitcnt lgkmcnt(0)
	v_add_f64 v[10:11], v[0:1], v[17:18]
	v_add_f64 v[27:28], v[19:20], v[2:3]
	v_add_f64 v[17:18], v[0:1], -v[17:18]
	v_add_f64 v[0:1], v[2:3], -v[19:20]
	s_mov_b32 s7, 0xbfebb67a
	v_add_u32_e32 v167, 0x7d, v160
	v_mul_lo_u16_sdwa v224, v167, s10 dst_sel:DWORD dst_unused:UNUSED_PAD src0_sel:BYTE_0 src1_sel:DWORD
	v_mov_b32_e32 v169, 6
	s_mov_b32 s14, 0x134454ff
	s_mov_b32 s15, 0x3fee6f0e
	;; [unrolled: 1-line block ×4, first 2 shown]
	s_movk_i32 s16, 0x89
	s_waitcnt vmcnt(2)
	v_fma_f64 v[2:3], v[17:18], v[8:9], v[10:11]
	v_fma_f64 v[19:20], v[27:28], v[8:9], v[0:1]
	v_fma_f64 v[10:11], -v[17:18], v[8:9], v[10:11]
	v_fma_f64 v[29:30], v[27:28], v[8:9], -v[0:1]
	v_fma_f64 v[0:1], -v[27:28], v[6:7], v[2:3]
	v_fma_f64 v[2:3], v[17:18], v[6:7], v[19:20]
	v_fma_f64 v[8:9], v[27:28], v[6:7], v[10:11]
	;; [unrolled: 1-line block ×3, first 2 shown]
	ds_write_b128 v164, v[0:3] offset:2000
	ds_write_b128 v12, v[8:11] offset:58000
	ds_read_b128 v[0:3], v164 offset:4000
	ds_read_b128 v[6:9], v12 offset:56000
	global_load_dwordx4 v[17:20], v[25:26], off offset:3904
	s_waitcnt lgkmcnt(0)
	v_add_f64 v[10:11], v[0:1], v[6:7]
	v_add_f64 v[25:26], v[8:9], v[2:3]
	v_add_f64 v[27:28], v[0:1], -v[6:7]
	v_add_f64 v[0:1], v[2:3], -v[8:9]
	s_waitcnt vmcnt(2)
	v_fma_f64 v[2:3], v[27:28], v[15:16], v[10:11]
	v_fma_f64 v[6:7], v[25:26], v[15:16], v[0:1]
	v_fma_f64 v[8:9], -v[27:28], v[15:16], v[10:11]
	v_fma_f64 v[10:11], v[25:26], v[15:16], -v[0:1]
	v_fma_f64 v[0:1], -v[25:26], v[13:14], v[2:3]
	v_fma_f64 v[2:3], v[27:28], v[13:14], v[6:7]
	v_fma_f64 v[6:7], v[25:26], v[13:14], v[8:9]
	;; [unrolled: 1-line block ×3, first 2 shown]
	v_add_co_u32_e32 v10, vcc, s18, v4
	ds_write_b128 v164, v[0:3] offset:4000
	ds_write_b128 v12, v[6:9] offset:56000
	v_addc_co_u32_e32 v11, vcc, 0, v5, vcc
	ds_read_b128 v[0:3], v164 offset:6000
	ds_read_b128 v[6:9], v12 offset:54000
	global_load_dwordx4 v[13:16], v[10:11], off offset:1808
	s_waitcnt lgkmcnt(0)
	v_add_f64 v[25:26], v[0:1], v[6:7]
	v_add_f64 v[27:28], v[8:9], v[2:3]
	v_add_f64 v[29:30], v[0:1], -v[6:7]
	v_add_f64 v[0:1], v[2:3], -v[8:9]
	s_waitcnt vmcnt(2)
	v_fma_f64 v[2:3], v[29:30], v[23:24], v[25:26]
	v_fma_f64 v[6:7], v[27:28], v[23:24], v[0:1]
	v_fma_f64 v[8:9], -v[29:30], v[23:24], v[25:26]
	v_fma_f64 v[23:24], v[27:28], v[23:24], -v[0:1]
	v_fma_f64 v[0:1], -v[27:28], v[21:22], v[2:3]
	v_fma_f64 v[2:3], v[29:30], v[21:22], v[6:7]
	v_fma_f64 v[6:7], v[27:28], v[21:22], v[8:9]
	v_fma_f64 v[8:9], v[29:30], v[21:22], v[23:24]
	ds_write_b128 v164, v[0:3] offset:6000
	ds_write_b128 v12, v[6:9] offset:54000
	ds_read_b128 v[0:3], v164 offset:8000
	ds_read_b128 v[6:9], v12 offset:52000
	global_load_dwordx4 v[21:24], v[10:11], off offset:3808
	s_waitcnt lgkmcnt(0)
	v_add_f64 v[10:11], v[0:1], v[6:7]
	v_add_f64 v[25:26], v[8:9], v[2:3]
	v_add_f64 v[27:28], v[0:1], -v[6:7]
	v_add_f64 v[0:1], v[2:3], -v[8:9]
	s_waitcnt vmcnt(2)
	v_fma_f64 v[2:3], v[27:28], v[19:20], v[10:11]
	v_fma_f64 v[6:7], v[25:26], v[19:20], v[0:1]
	v_fma_f64 v[8:9], -v[27:28], v[19:20], v[10:11]
	v_fma_f64 v[10:11], v[25:26], v[19:20], -v[0:1]
	v_fma_f64 v[0:1], -v[25:26], v[17:18], v[2:3]
	v_fma_f64 v[2:3], v[27:28], v[17:18], v[6:7]
	v_fma_f64 v[6:7], v[25:26], v[17:18], v[8:9]
	v_fma_f64 v[8:9], v[27:28], v[17:18], v[10:11]
	v_add_co_u32_e32 v10, vcc, s4, v4
	ds_write_b128 v164, v[0:3] offset:8000
	ds_write_b128 v12, v[6:9] offset:52000
	v_addc_co_u32_e32 v11, vcc, 0, v5, vcc
	ds_read_b128 v[0:3], v164 offset:10000
	ds_read_b128 v[6:9], v12 offset:50000
	global_load_dwordx4 v[17:20], v[10:11], off offset:1712
	s_movk_i32 s4, 0x4000
	s_waitcnt lgkmcnt(0)
	v_add_f64 v[25:26], v[0:1], v[6:7]
	v_add_f64 v[27:28], v[8:9], v[2:3]
	v_add_f64 v[29:30], v[0:1], -v[6:7]
	v_add_f64 v[0:1], v[2:3], -v[8:9]
	s_waitcnt vmcnt(2)
	v_fma_f64 v[2:3], v[29:30], v[15:16], v[25:26]
	v_fma_f64 v[6:7], v[27:28], v[15:16], v[0:1]
	v_fma_f64 v[8:9], -v[29:30], v[15:16], v[25:26]
	v_fma_f64 v[15:16], v[27:28], v[15:16], -v[0:1]
	v_fma_f64 v[0:1], -v[27:28], v[13:14], v[2:3]
	v_fma_f64 v[2:3], v[29:30], v[13:14], v[6:7]
	v_fma_f64 v[6:7], v[27:28], v[13:14], v[8:9]
	v_fma_f64 v[8:9], v[29:30], v[13:14], v[15:16]
	ds_write_b128 v164, v[0:3] offset:10000
	ds_write_b128 v12, v[6:9] offset:50000
	ds_read_b128 v[0:3], v164 offset:12000
	ds_read_b128 v[6:9], v12 offset:48000
	global_load_dwordx4 v[13:16], v[10:11], off offset:3712
	s_waitcnt lgkmcnt(0)
	v_add_f64 v[10:11], v[0:1], v[6:7]
	v_add_f64 v[25:26], v[8:9], v[2:3]
	v_add_f64 v[27:28], v[0:1], -v[6:7]
	v_add_f64 v[0:1], v[2:3], -v[8:9]
	s_waitcnt vmcnt(2)
	v_fma_f64 v[2:3], v[27:28], v[23:24], v[10:11]
	v_fma_f64 v[6:7], v[25:26], v[23:24], v[0:1]
	v_fma_f64 v[8:9], -v[27:28], v[23:24], v[10:11]
	v_fma_f64 v[10:11], v[25:26], v[23:24], -v[0:1]
	v_fma_f64 v[0:1], -v[25:26], v[21:22], v[2:3]
	v_fma_f64 v[2:3], v[27:28], v[21:22], v[6:7]
	v_fma_f64 v[6:7], v[25:26], v[21:22], v[8:9]
	v_fma_f64 v[8:9], v[27:28], v[21:22], v[10:11]
	v_add_co_u32_e32 v10, vcc, s4, v4
	ds_write_b128 v164, v[0:3] offset:12000
	ds_write_b128 v12, v[6:9] offset:48000
	v_addc_co_u32_e32 v11, vcc, 0, v5, vcc
	ds_read_b128 v[0:3], v164 offset:14000
	ds_read_b128 v[6:9], v12 offset:46000
	global_load_dwordx4 v[21:24], v[10:11], off offset:1616
	s_movk_i32 s4, 0x5000
	;; [unrolled: 41-line block ×3, first 2 shown]
	s_waitcnt lgkmcnt(0)
	v_add_f64 v[25:26], v[0:1], v[6:7]
	v_add_f64 v[27:28], v[8:9], v[2:3]
	v_add_f64 v[29:30], v[0:1], -v[6:7]
	v_add_f64 v[0:1], v[2:3], -v[8:9]
	s_waitcnt vmcnt(2)
	v_fma_f64 v[2:3], v[29:30], v[23:24], v[25:26]
	v_fma_f64 v[6:7], v[27:28], v[23:24], v[0:1]
	v_fma_f64 v[8:9], -v[29:30], v[23:24], v[25:26]
	v_fma_f64 v[23:24], v[27:28], v[23:24], -v[0:1]
	v_fma_f64 v[0:1], -v[27:28], v[21:22], v[2:3]
	v_fma_f64 v[2:3], v[29:30], v[21:22], v[6:7]
	v_fma_f64 v[6:7], v[27:28], v[21:22], v[8:9]
	;; [unrolled: 1-line block ×3, first 2 shown]
	ds_write_b128 v164, v[0:3] offset:18000
	ds_write_b128 v12, v[6:9] offset:42000
	ds_read_b128 v[0:3], v164 offset:20000
	ds_read_b128 v[6:9], v12 offset:40000
	global_load_dwordx4 v[21:24], v[10:11], off offset:3520
	s_waitcnt lgkmcnt(0)
	v_add_f64 v[10:11], v[0:1], v[6:7]
	v_add_f64 v[25:26], v[8:9], v[2:3]
	v_add_f64 v[27:28], v[0:1], -v[6:7]
	v_add_f64 v[0:1], v[2:3], -v[8:9]
	s_waitcnt vmcnt(2)
	v_fma_f64 v[2:3], v[27:28], v[19:20], v[10:11]
	v_fma_f64 v[6:7], v[25:26], v[19:20], v[0:1]
	v_fma_f64 v[8:9], -v[27:28], v[19:20], v[10:11]
	v_fma_f64 v[10:11], v[25:26], v[19:20], -v[0:1]
	v_fma_f64 v[0:1], -v[25:26], v[17:18], v[2:3]
	v_fma_f64 v[2:3], v[27:28], v[17:18], v[6:7]
	v_fma_f64 v[6:7], v[25:26], v[17:18], v[8:9]
	;; [unrolled: 1-line block ×3, first 2 shown]
	v_add_co_u32_e32 v25, vcc, s4, v4
	ds_write_b128 v164, v[0:3] offset:20000
	ds_write_b128 v12, v[6:9] offset:40000
	v_addc_co_u32_e32 v26, vcc, 0, v5, vcc
	ds_read_b128 v[0:3], v164 offset:22000
	ds_read_b128 v[6:9], v12 offset:38000
	global_load_dwordx4 v[17:20], v[25:26], off offset:1424
	s_mov_b32 s4, 0xe8584caa
	s_mov_b32 s5, 0x3febb67a
	;; [unrolled: 1-line block ×3, first 2 shown]
	s_waitcnt lgkmcnt(0)
	v_add_f64 v[4:5], v[0:1], v[6:7]
	v_add_f64 v[10:11], v[8:9], v[2:3]
	v_add_f64 v[6:7], v[0:1], -v[6:7]
	v_add_f64 v[0:1], v[2:3], -v[8:9]
	s_waitcnt vmcnt(2)
	v_fma_f64 v[2:3], v[6:7], v[15:16], v[4:5]
	v_fma_f64 v[8:9], v[10:11], v[15:16], v[0:1]
	v_fma_f64 v[4:5], -v[6:7], v[15:16], v[4:5]
	v_fma_f64 v[15:16], v[10:11], v[15:16], -v[0:1]
	v_fma_f64 v[0:1], -v[10:11], v[13:14], v[2:3]
	v_fma_f64 v[2:3], v[6:7], v[13:14], v[8:9]
	v_fma_f64 v[4:5], v[10:11], v[13:14], v[4:5]
	;; [unrolled: 1-line block ×3, first 2 shown]
	ds_write_b128 v164, v[0:3] offset:22000
	ds_write_b128 v12, v[4:7] offset:38000
	ds_read_b128 v[4:7], v164 offset:24000
	ds_read_b128 v[8:11], v12 offset:36000
	global_load_dwordx4 v[0:3], v[25:26], off offset:3424
	s_waitcnt lgkmcnt(0)
	v_add_f64 v[13:14], v[4:5], v[8:9]
	v_add_f64 v[15:16], v[10:11], v[6:7]
	v_add_f64 v[25:26], v[4:5], -v[8:9]
	v_add_f64 v[4:5], v[6:7], -v[10:11]
	s_waitcnt vmcnt(2)
	v_fma_f64 v[6:7], v[25:26], v[23:24], v[13:14]
	v_fma_f64 v[8:9], v[15:16], v[23:24], v[4:5]
	v_fma_f64 v[10:11], -v[25:26], v[23:24], v[13:14]
	v_fma_f64 v[13:14], v[15:16], v[23:24], -v[4:5]
	v_fma_f64 v[4:5], -v[15:16], v[21:22], v[6:7]
	v_fma_f64 v[6:7], v[25:26], v[21:22], v[8:9]
	v_fma_f64 v[8:9], v[15:16], v[21:22], v[10:11]
	;; [unrolled: 1-line block ×3, first 2 shown]
	ds_write_b128 v164, v[4:7] offset:24000
	ds_write_b128 v12, v[8:11] offset:36000
	ds_read_b128 v[4:7], v164 offset:26000
	ds_read_b128 v[8:11], v12 offset:34000
	s_waitcnt lgkmcnt(0)
	v_add_f64 v[13:14], v[4:5], v[8:9]
	v_add_f64 v[15:16], v[10:11], v[6:7]
	v_add_f64 v[21:22], v[4:5], -v[8:9]
	v_add_f64 v[4:5], v[6:7], -v[10:11]
	s_waitcnt vmcnt(1)
	v_fma_f64 v[6:7], v[21:22], v[19:20], v[13:14]
	v_fma_f64 v[8:9], v[15:16], v[19:20], v[4:5]
	v_fma_f64 v[10:11], -v[21:22], v[19:20], v[13:14]
	v_fma_f64 v[13:14], v[15:16], v[19:20], -v[4:5]
	v_fma_f64 v[4:5], -v[15:16], v[17:18], v[6:7]
	v_fma_f64 v[6:7], v[21:22], v[17:18], v[8:9]
	v_fma_f64 v[8:9], v[15:16], v[17:18], v[10:11]
	v_fma_f64 v[10:11], v[21:22], v[17:18], v[13:14]
	ds_write_b128 v164, v[4:7] offset:26000
	ds_write_b128 v12, v[8:11] offset:34000
	ds_read_b128 v[4:7], v164 offset:28000
	ds_read_b128 v[8:11], v12 offset:32000
	v_mad_u32_u24 v13, v160, 48, 0
	v_add_u32_e32 v161, 0x7538, v13
	v_add_u32_e32 v168, 0x7548, v13
	;; [unrolled: 1-line block ×3, first 2 shown]
	s_waitcnt lgkmcnt(0)
	v_add_f64 v[14:15], v[4:5], v[8:9]
	v_add_f64 v[16:17], v[10:11], v[6:7]
	v_add_f64 v[8:9], v[4:5], -v[8:9]
	v_add_f64 v[4:5], v[6:7], -v[10:11]
	v_add_u32_e32 v221, 0x8cb8, v13
	v_add_u32_e32 v222, 0xd2f8, v13
	;; [unrolled: 1-line block ×3, first 2 shown]
	s_waitcnt vmcnt(0)
	v_fma_f64 v[6:7], v[8:9], v[2:3], v[14:15]
	v_fma_f64 v[10:11], v[16:17], v[2:3], v[4:5]
	v_fma_f64 v[14:15], -v[8:9], v[2:3], v[14:15]
	v_fma_f64 v[18:19], v[16:17], v[2:3], -v[4:5]
	v_fma_f64 v[2:3], -v[16:17], v[0:1], v[6:7]
	v_fma_f64 v[4:5], v[8:9], v[0:1], v[10:11]
	v_fma_f64 v[6:7], v[16:17], v[0:1], v[14:15]
	v_fma_f64 v[8:9], v[8:9], v[0:1], v[18:19]
	v_mul_lo_u16_sdwa v0, v160, s10 dst_sel:DWORD dst_unused:UNUSED_PAD src0_sel:BYTE_0 src1_sel:DWORD
	v_lshrrev_b16_e32 v174, 9, v0
	v_mul_lo_u16_e32 v0, 3, v174
	v_sub_u16_e32 v175, v160, v0
	ds_write_b128 v164, v[2:5] offset:28000
	ds_write_b128 v12, v[6:9] offset:32000
	s_waitcnt lgkmcnt(0)
	s_barrier
	s_barrier
	ds_read_b128 v[0:3], v164 offset:2000
	ds_read_b128 v[4:7], v164 offset:4000
	;; [unrolled: 1-line block ×28, first 2 shown]
	ds_read_b128 v[114:117], v164
	ds_read_b128 v[118:121], v164 offset:58000
	s_waitcnt lgkmcnt(14)
	v_add_f64 v[154:155], v[26:27], v[34:35]
	s_waitcnt lgkmcnt(3)
	v_add_f64 v[126:127], v[98:99], v[106:107]
	v_add_f64 v[128:129], v[100:101], -v[108:109]
	s_waitcnt lgkmcnt(1)
	v_add_f64 v[124:125], v[116:117], v[100:101]
	v_add_f64 v[100:101], v[100:101], v[108:109]
	;; [unrolled: 1-line block ×4, first 2 shown]
	v_add_f64 v[165:166], v[36:37], -v[44:45]
	v_add_f64 v[170:171], v[36:37], v[44:45]
	v_add_f64 v[172:173], v[34:35], -v[42:43]
	v_add_f64 v[34:35], v[30:31], v[38:39]
	v_add_f64 v[36:37], v[32:33], v[40:41]
	;; [unrolled: 1-line block ×7, first 2 shown]
	v_add_f64 v[182:183], v[38:39], -v[46:47]
	v_add_f64 v[38:39], v[50:51], v[58:59]
	v_add_f64 v[184:185], v[58:59], v[66:67]
	v_add_f64 v[188:189], v[58:59], -v[66:67]
	v_add_f64 v[58:59], v[54:55], v[62:63]
	v_add_f64 v[146:147], v[14:15], v[22:23]
	;; [unrolled: 1-line block ×3, first 2 shown]
	v_add_f64 v[178:179], v[40:41], -v[48:49]
	v_add_f64 v[180:181], v[40:41], v[48:49]
	v_add_f64 v[40:41], v[52:53], v[60:61]
	;; [unrolled: 1-line block ×6, first 2 shown]
	v_add_f64 v[98:99], v[98:99], -v[106:107]
	v_add_f64 v[186:187], v[60:61], -v[68:69]
	v_add_f64 v[60:61], v[60:61], v[68:69]
	v_add_f64 v[192:193], v[62:63], v[70:71]
	v_add_f64 v[194:195], v[64:65], -v[72:73]
	v_add_f64 v[64:65], v[64:65], v[72:73]
	v_add_f64 v[200:201], v[82:83], v[90:91]
	;; [unrolled: 1-line block ×6, first 2 shown]
	s_waitcnt lgkmcnt(0)
	v_add_f64 v[216:217], v[110:111], v[118:119]
	v_add_f64 v[218:219], v[112:113], v[120:121]
	;; [unrolled: 1-line block ×4, first 2 shown]
	v_fma_f64 v[46:47], v[126:127], -0.5, v[114:115]
	v_fma_f64 v[48:49], v[100:101], -0.5, v[116:117]
	v_add_f64 v[136:137], v[10:11], -v[20:21]
	v_add_f64 v[140:141], v[8:9], -v[18:19]
	;; [unrolled: 1-line block ×3, first 2 shown]
	v_add_f64 v[14:15], v[130:131], v[18:19]
	v_add_f64 v[18:19], v[142:143], v[22:23]
	v_add_f64 v[22:23], v[154:155], v[42:43]
	v_add_f64 v[38:39], v[38:39], v[66:67]
	v_add_f64 v[42:43], v[58:59], v[70:71]
	v_fma_f64 v[58:59], v[134:135], -0.5, v[0:1]
	v_fma_f64 v[66:67], v[138:139], -0.5, v[2:3]
	v_add_f64 v[148:149], v[16:17], -v[24:25]
	v_add_f64 v[196:197], v[62:63], -v[70:71]
	v_add_f64 v[40:41], v[40:41], v[68:69]
	v_fma_f64 v[68:69], v[146:147], -0.5, v[4:5]
	v_fma_f64 v[70:71], v[150:151], -0.5, v[6:7]
	v_add_f64 v[62:63], v[74:75], v[82:83]
	v_add_f64 v[16:17], v[132:133], v[20:21]
	;; [unrolled: 1-line block ×5, first 2 shown]
	v_fma_f64 v[72:73], v[158:159], -0.5, v[26:27]
	v_fma_f64 v[100:101], v[170:171], -0.5, v[28:29]
	v_add_f64 v[8:9], v[122:123], v[106:107]
	v_fma_f64 v[106:107], v[176:177], -0.5, v[30:31]
	v_add_f64 v[198:199], v[76:77], v[84:85]
	v_add_f64 v[84:85], v[84:85], -v[92:93]
	v_add_f64 v[82:83], v[82:83], -v[90:91]
	v_add_f64 v[206:207], v[80:81], v[88:89]
	v_add_f64 v[88:89], v[88:89], -v[96:97]
	v_add_f64 v[86:87], v[86:87], -v[94:95]
	v_add_f64 v[212:213], v[102:103], v[110:111]
	v_add_f64 v[214:215], v[104:105], v[112:113]
	v_add_f64 v[112:113], v[112:113], -v[120:121]
	v_add_f64 v[110:111], v[110:111], -v[118:119]
	v_add_f64 v[10:11], v[124:125], v[108:109]
	v_fma_f64 v[108:109], v[180:181], -0.5, v[32:33]
	v_fma_f64 v[74:75], v[200:201], -0.5, v[74:75]
	;; [unrolled: 1-line block ×3, first 2 shown]
	v_add_f64 v[94:95], v[204:205], v[94:95]
	v_fma_f64 v[78:79], v[208:209], -0.5, v[78:79]
	v_fma_f64 v[80:81], v[210:211], -0.5, v[80:81]
	;; [unrolled: 1-line block ×8, first 2 shown]
	v_fma_f64 v[0:1], v[128:129], s[4:5], v[46:47]
	v_fma_f64 v[2:3], v[98:99], s[6:7], v[48:49]
	;; [unrolled: 1-line block ×10, first 2 shown]
	v_add_f64 v[90:91], v[62:63], v[90:91]
	v_fma_f64 v[50:51], v[148:149], s[6:7], v[68:69]
	v_fma_f64 v[52:53], v[152:153], s[4:5], v[70:71]
	;; [unrolled: 1-line block ×8, first 2 shown]
	v_lshrrev_b16_e32 v178, 9, v224
	v_lshlrev_b32_sdwa v225, v169, v175 dst_sel:DWORD dst_unused:UNUSED_PAD src0_sel:DWORD src1_sel:BYTE_0
	s_barrier
	v_add_f64 v[92:93], v[198:199], v[92:93]
	v_add_f64 v[96:97], v[206:207], v[96:97]
	v_add_f64 v[118:119], v[212:213], v[118:119]
	v_add_f64 v[120:121], v[214:215], v[120:121]
	v_fma_f64 v[64:65], v[182:183], s[6:7], v[108:109]
	v_fma_f64 v[68:69], v[182:183], s[4:5], v[108:109]
	ds_write_b128 v13, v[8:11]
	ds_write_b128 v13, v[14:17] offset:6000
	ds_write_b128 v13, v[18:21] offset:12000
	;; [unrolled: 1-line block ×4, first 2 shown]
	ds_write_b64 v13, v[90:91] offset:30000
	v_fma_f64 v[34:35], v[84:85], s[4:5], v[74:75]
	v_fma_f64 v[36:37], v[84:85], s[6:7], v[74:75]
	;; [unrolled: 1-line block ×4, first 2 shown]
	ds_write_b64 v13, v[94:95] offset:36000
	v_fma_f64 v[74:75], v[88:89], s[4:5], v[78:79]
	v_fma_f64 v[76:77], v[88:89], s[6:7], v[78:79]
	;; [unrolled: 1-line block ×16, first 2 shown]
	ds_write_b128 v13, v[0:3] offset:16
	ds_write_b128 v13, v[4:7] offset:32
	;; [unrolled: 1-line block ×10, first 2 shown]
	ds_write2_b64 v161, v[92:93], v[34:35] offset1:1
	ds_write2_b64 v168, v[70:71], v[36:37] offset1:1
	ds_write_b64 v13, v[72:73] offset:30040
	ds_write2_b64 v220, v[96:97], v[74:75] offset1:1
	ds_write2_b64 v221, v[78:79], v[76:77] offset1:1
	ds_write_b128 v13, v[38:41] offset:42000
	ds_write_b128 v13, v[8:11] offset:42016
	;; [unrolled: 1-line block ×5, first 2 shown]
	ds_write_b64 v13, v[80:81] offset:36040
	ds_write_b128 v13, v[22:25] offset:48032
	ds_write_b64 v13, v[118:119] offset:54000
	ds_write2_b64 v222, v[120:121], v[82:83] offset1:1
	ds_write2_b64 v223, v[86:87], v[84:85] offset1:1
	ds_write_b64 v13, v[88:89] offset:54040
	v_mul_lo_u16_e32 v0, 3, v178
	s_waitcnt lgkmcnt(0)
	s_barrier
	global_load_dwordx4 v[4:7], v225, s[8:9] offset:32
	v_sub_u16_e32 v179, v167, v0
	global_load_dwordx4 v[0:3], v225, s[8:9] offset:48
	v_lshlrev_b32_sdwa v32, v169, v179 dst_sel:DWORD dst_unused:UNUSED_PAD src0_sel:DWORD src1_sel:BYTE_0
	s_mov_b32 s4, 0xaaab
	v_add_u32_e32 v168, 0xfa, v160
	global_load_dwordx4 v[12:15], v225, s[8:9]
	global_load_dwordx4 v[8:11], v225, s[8:9] offset:16
	global_load_dwordx4 v[16:19], v32, s[8:9]
	global_load_dwordx4 v[20:23], v32, s[8:9] offset:16
	global_load_dwordx4 v[24:27], v32, s[8:9] offset:32
	global_load_dwordx4 v[28:31], v32, s[8:9] offset:48
	v_mul_u32_u24_sdwa v32, v168, s4 dst_sel:DWORD dst_unused:UNUSED_PAD src0_sel:WORD_0 src1_sel:DWORD
	v_lshrrev_b32_e32 v172, 17, v32
	v_mul_lo_u16_e32 v32, 3, v172
	v_sub_u16_e32 v173, v168, v32
	v_lshlrev_b32_e32 v36, 6, v173
	global_load_dwordx4 v[32:35], v36, s[8:9]
	global_load_dwordx4 v[68:71], v36, s[8:9] offset:16
	v_add_u32_e32 v161, 0x177, v160
	v_mul_u32_u24_sdwa v37, v161, s4 dst_sel:DWORD dst_unused:UNUSED_PAD src0_sel:WORD_0 src1_sel:DWORD
	v_lshrrev_b32_e32 v181, 17, v37
	global_load_dwordx4 v[64:67], v36, s[8:9] offset:32
	global_load_dwordx4 v[72:75], v36, s[8:9] offset:48
	v_mul_lo_u16_e32 v36, 3, v181
	v_sub_u16_e32 v180, v161, v36
	v_lshlrev_b32_e32 v36, 6, v180
	global_load_dwordx4 v[76:79], v36, s[8:9]
	global_load_dwordx4 v[52:55], v36, s[8:9] offset:16
	v_add_u32_e32 v165, 0x1f4, v160
	v_mul_u32_u24_sdwa v38, v165, s4 dst_sel:DWORD dst_unused:UNUSED_PAD src0_sel:WORD_0 src1_sel:DWORD
	v_lshrrev_b32_e32 v176, 17, v38
	v_mul_lo_u16_e32 v37, 3, v176
	ds_read_b128 v[128:131], v164 offset:12000
	ds_read_b128 v[108:111], v164 offset:14000
	;; [unrolled: 1-line block ×3, first 2 shown]
	global_load_dwordx4 v[60:63], v36, s[8:9] offset:32
	global_load_dwordx4 v[56:59], v36, s[8:9] offset:48
	v_sub_u16_e32 v177, v165, v37
	v_lshlrev_b32_e32 v37, 6, v177
	ds_read_b128 v[120:123], v164 offset:26000
	ds_read_b128 v[84:87], v164 offset:28000
	;; [unrolled: 1-line block ×6, first 2 shown]
	global_load_dwordx4 v[80:83], v37, s[8:9]
	global_load_dwordx4 v[48:51], v37, s[8:9] offset:16
	global_load_dwordx4 v[44:47], v37, s[8:9] offset:32
	;; [unrolled: 1-line block ×3, first 2 shown]
	v_add_u32_e32 v166, 0x271, v160
	v_mul_u32_u24_sdwa v39, v166, s4 dst_sel:DWORD dst_unused:UNUSED_PAD src0_sel:WORD_0 src1_sel:DWORD
	v_lshrrev_b32_e32 v170, 17, v39
	v_mul_lo_u16_e32 v38, 3, v170
	v_sub_u16_e32 v171, v166, v38
	v_lshlrev_b32_e32 v38, 6, v171
	ds_read_b128 v[148:151], v164 offset:24000
	ds_read_b128 v[100:103], v164 offset:22000
	global_load_dwordx4 v[104:107], v38, s[8:9]
	global_load_dwordx4 v[124:127], v38, s[8:9] offset:16
	ds_read_b128 v[152:155], v164 offset:36000
	ds_read_b128 v[132:135], v164 offset:34000
	;; [unrolled: 1-line block ×4, first 2 shown]
	global_load_dwordx4 v[140:143], v38, s[8:9] offset:32
	global_load_dwordx4 v[144:147], v38, s[8:9] offset:48
	ds_read_b128 v[36:39], v164 offset:10000
	s_mov_b32 s6, 0x4755a5e
	s_mov_b32 s10, s14
	s_mov_b32 s7, 0x3fe2cf23
	s_mov_b32 s12, s6
	s_mov_b32 s4, 0x372fe950
	s_mov_b32 s5, 0x3fd3c6ef
	s_waitcnt vmcnt(23) lgkmcnt(4)
	v_mul_f64 v[186:187], v[154:155], v[6:7]
	v_mul_f64 v[6:7], v[152:153], v[6:7]
	s_waitcnt vmcnt(22) lgkmcnt(2)
	v_mul_f64 v[188:189], v[158:159], v[2:3]
	v_mul_f64 v[2:3], v[156:157], v[2:3]
	s_waitcnt vmcnt(19)
	v_mul_f64 v[190:191], v[110:111], v[18:19]
	v_mul_f64 v[182:183], v[130:131], v[14:15]
	;; [unrolled: 1-line block ×5, first 2 shown]
	v_fma_f64 v[156:157], v[156:157], v[0:1], -v[188:189]
	v_fma_f64 v[158:159], v[158:159], v[0:1], v[2:3]
	v_mul_f64 v[18:19], v[108:109], v[18:19]
	s_waitcnt vmcnt(18)
	v_mul_f64 v[192:193], v[122:123], v[22:23]
	s_waitcnt vmcnt(15)
	v_mul_f64 v[0:1], v[98:99], v[34:35]
	v_mul_f64 v[2:3], v[96:97], v[34:35]
	;; [unrolled: 1-line block ×3, first 2 shown]
	v_fma_f64 v[128:129], v[128:129], v[12:13], -v[182:183]
	v_fma_f64 v[130:131], v[130:131], v[12:13], v[14:15]
	v_fma_f64 v[148:149], v[148:149], v[8:9], -v[184:185]
	v_fma_f64 v[150:151], v[150:151], v[8:9], v[10:11]
	v_fma_f64 v[152:153], v[152:153], v[4:5], -v[186:187]
	v_fma_f64 v[96:97], v[96:97], v[32:33], -v[0:1]
	v_fma_f64 v[98:99], v[98:99], v[32:33], v[2:3]
	ds_read_b128 v[0:3], v164 offset:18000
	v_fma_f64 v[154:155], v[154:155], v[4:5], v[6:7]
	v_fma_f64 v[110:111], v[110:111], v[16:17], v[18:19]
	v_fma_f64 v[120:121], v[120:121], v[20:21], -v[192:193]
	v_fma_f64 v[122:123], v[122:123], v[20:21], v[22:23]
	s_waitcnt vmcnt(14)
	v_mul_f64 v[4:5], v[86:87], v[70:71]
	v_mul_f64 v[8:9], v[84:85], v[70:71]
	s_waitcnt vmcnt(13)
	v_mul_f64 v[10:11], v[90:91], v[66:67]
	v_mul_f64 v[12:13], v[88:89], v[66:67]
	s_waitcnt vmcnt(12)
	v_mul_f64 v[14:15], v[94:95], v[74:75]
	s_waitcnt vmcnt(11) lgkmcnt(0)
	v_mul_f64 v[18:19], v[2:3], v[78:79]
	v_mul_f64 v[20:21], v[0:1], v[78:79]
	v_fma_f64 v[108:109], v[108:109], v[16:17], -v[190:191]
	v_mul_f64 v[16:17], v[92:93], v[74:75]
	v_mul_f64 v[194:195], v[114:115], v[26:27]
	;; [unrolled: 1-line block ×5, first 2 shown]
	v_fma_f64 v[84:85], v[84:85], v[68:69], -v[4:5]
	ds_read_b128 v[4:7], v164 offset:20000
	v_fma_f64 v[74:75], v[86:87], v[68:69], v[8:9]
	v_fma_f64 v[78:79], v[88:89], v[64:65], -v[10:11]
	ds_read_b128 v[8:11], v164 offset:30000
	v_fma_f64 v[86:87], v[90:91], v[64:65], v[12:13]
	v_fma_f64 v[88:89], v[92:93], v[72:73], -v[14:15]
	v_fma_f64 v[90:91], v[0:1], v[76:77], -v[18:19]
	v_fma_f64 v[76:77], v[2:3], v[76:77], v[20:21]
	ds_read_b128 v[0:3], v164 offset:32000
	ds_read_b128 v[12:15], v164 offset:42000
	v_fma_f64 v[72:73], v[94:95], v[72:73], v[16:17]
	ds_read_b128 v[16:19], v164 offset:54000
	ds_read_b128 v[32:35], v164 offset:44000
	v_fma_f64 v[114:115], v[114:115], v[24:25], v[26:27]
	v_fma_f64 v[116:117], v[116:117], v[28:29], -v[196:197]
	v_fma_f64 v[118:119], v[118:119], v[28:29], v[30:31]
	s_waitcnt vmcnt(10) lgkmcnt(4)
	v_mul_f64 v[20:21], v[10:11], v[54:55]
	v_mul_f64 v[22:23], v[8:9], v[54:55]
	s_waitcnt vmcnt(9) lgkmcnt(2)
	v_mul_f64 v[26:27], v[12:13], v[62:63]
	s_waitcnt vmcnt(8) lgkmcnt(1)
	v_mul_f64 v[28:29], v[18:19], v[58:59]
	v_mul_f64 v[30:31], v[16:17], v[58:59]
	s_waitcnt vmcnt(7)
	v_mul_f64 v[54:55], v[6:7], v[82:83]
	v_mul_f64 v[58:59], v[4:5], v[82:83]
	v_fma_f64 v[112:113], v[112:113], v[24:25], -v[194:195]
	v_mul_f64 v[24:25], v[14:15], v[62:63]
	v_fma_f64 v[82:83], v[8:9], v[52:53], -v[20:21]
	v_fma_f64 v[184:185], v[14:15], v[60:61], v[26:27]
	ds_read_b128 v[62:65], v164 offset:56000
	v_fma_f64 v[94:95], v[10:11], v[52:53], v[22:23]
	v_fma_f64 v[26:27], v[4:5], v[80:81], -v[54:55]
	v_fma_f64 v[20:21], v[6:7], v[80:81], v[58:59]
	s_waitcnt vmcnt(6)
	v_mul_f64 v[4:5], v[2:3], v[50:51]
	v_mul_f64 v[6:7], v[0:1], v[50:51]
	v_fma_f64 v[182:183], v[12:13], v[60:61], -v[24:25]
	v_fma_f64 v[186:187], v[16:17], v[56:57], -v[28:29]
	v_fma_f64 v[188:189], v[18:19], v[56:57], v[30:31]
	s_waitcnt vmcnt(5) lgkmcnt(1)
	v_mul_f64 v[8:9], v[34:35], v[46:47]
	v_mul_f64 v[10:11], v[32:33], v[46:47]
	s_waitcnt vmcnt(3)
	v_mul_f64 v[46:47], v[100:101], v[106:107]
	v_fma_f64 v[30:31], v[0:1], v[48:49], -v[4:5]
	v_fma_f64 v[28:29], v[2:3], v[48:49], v[6:7]
	ds_read_b128 v[0:3], v164 offset:58000
	s_waitcnt lgkmcnt(1)
	v_mul_f64 v[12:13], v[64:65], v[42:43]
	v_mul_f64 v[14:15], v[62:63], v[42:43]
	;; [unrolled: 1-line block ×3, first 2 shown]
	v_fma_f64 v[24:25], v[32:33], v[44:45], -v[8:9]
	v_fma_f64 v[22:23], v[34:35], v[44:45], v[10:11]
	v_fma_f64 v[4:5], v[102:103], v[104:105], v[46:47]
	s_waitcnt vmcnt(2)
	v_mul_f64 v[10:11], v[132:133], v[126:127]
	s_waitcnt vmcnt(0) lgkmcnt(0)
	v_mul_f64 v[44:45], v[2:3], v[146:147]
	v_fma_f64 v[16:17], v[62:63], v[40:41], -v[12:13]
	v_fma_f64 v[18:19], v[64:65], v[40:41], v[14:15]
	v_mul_f64 v[40:41], v[138:139], v[142:143]
	v_mul_f64 v[46:47], v[0:1], v[146:147]
	v_add_f64 v[48:49], v[148:149], v[152:153]
	ds_read_b128 v[32:35], v164
	v_fma_f64 v[8:9], v[100:101], v[104:105], -v[42:43]
	v_mul_f64 v[6:7], v[134:135], v[126:127]
	v_mul_f64 v[42:43], v[136:137], v[142:143]
	v_fma_f64 v[12:13], v[134:135], v[124:125], v[10:11]
	v_fma_f64 v[10:11], v[136:137], v[140:141], -v[40:41]
	v_add_f64 v[40:41], v[150:151], v[154:155]
	v_fma_f64 v[0:1], v[0:1], v[144:145], -v[44:45]
	v_fma_f64 v[2:3], v[2:3], v[144:145], v[46:47]
	s_waitcnt lgkmcnt(0)
	v_fma_f64 v[44:45], v[48:49], -0.5, v[32:33]
	v_add_f64 v[46:47], v[130:131], -v[158:159]
	v_fma_f64 v[14:15], v[132:133], v[124:125], -v[6:7]
	v_fma_f64 v[6:7], v[138:139], v[140:141], v[42:43]
	v_add_f64 v[42:43], v[128:129], -v[148:149]
	v_add_f64 v[48:49], v[156:157], -v[152:153]
	v_fma_f64 v[40:41], v[40:41], -0.5, v[34:35]
	v_add_f64 v[52:53], v[128:129], -v[156:157]
	v_add_f64 v[58:59], v[150:151], -v[154:155]
	v_fma_f64 v[56:57], v[46:47], s[14:15], v[44:45]
	v_add_f64 v[50:51], v[130:131], -v[150:151]
	v_add_f64 v[54:55], v[158:159], -v[154:155]
	;; [unrolled: 1-line block ×3, first 2 shown]
	v_add_f64 v[48:49], v[42:43], v[48:49]
	v_add_f64 v[64:65], v[130:131], v[158:159]
	v_fma_f64 v[60:61], v[52:53], s[10:11], v[40:41]
	v_add_f64 v[66:67], v[32:33], v[128:129]
	v_fma_f64 v[42:43], v[58:59], s[6:7], v[56:57]
	v_add_f64 v[56:57], v[128:129], v[156:157]
	v_add_f64 v[50:51], v[50:51], v[54:55]
	v_fma_f64 v[44:45], v[46:47], s[10:11], v[44:45]
	v_add_f64 v[68:69], v[152:153], -v[156:157]
	v_add_f64 v[70:71], v[150:151], -v[130:131]
	v_fma_f64 v[54:55], v[62:63], s[12:13], v[60:61]
	v_fma_f64 v[60:61], v[52:53], s[14:15], v[40:41]
	;; [unrolled: 1-line block ×3, first 2 shown]
	v_fma_f64 v[32:33], v[56:57], -0.5, v[32:33]
	v_add_f64 v[56:57], v[34:35], v[130:131]
	v_fma_f64 v[34:35], v[64:65], -0.5, v[34:35]
	v_add_f64 v[64:65], v[148:149], -v[128:129]
	v_fma_f64 v[44:45], v[58:59], s[12:13], v[44:45]
	v_fma_f64 v[42:43], v[50:51], s[4:5], v[54:55]
	;; [unrolled: 1-line block ×3, first 2 shown]
	v_add_f64 v[60:61], v[66:67], v[148:149]
	v_fma_f64 v[66:67], v[58:59], s[10:11], v[32:33]
	v_add_f64 v[56:57], v[56:57], v[150:151]
	v_fma_f64 v[32:33], v[58:59], s[14:15], v[32:33]
	v_add_f64 v[80:81], v[154:155], -v[158:159]
	v_fma_f64 v[92:93], v[62:63], s[14:15], v[34:35]
	v_fma_f64 v[34:35], v[62:63], s[10:11], v[34:35]
	v_add_f64 v[100:101], v[110:111], v[118:119]
	v_add_f64 v[58:59], v[60:61], v[152:153]
	;; [unrolled: 1-line block ×4, first 2 shown]
	v_fma_f64 v[62:63], v[46:47], s[6:7], v[66:67]
	v_fma_f64 v[68:69], v[46:47], s[12:13], v[32:33]
	v_add_f64 v[64:65], v[70:71], v[80:81]
	v_fma_f64 v[66:67], v[52:53], s[12:13], v[92:93]
	v_fma_f64 v[70:71], v[52:53], s[6:7], v[34:35]
	;; [unrolled: 1-line block ×3, first 2 shown]
	v_add_f64 v[44:45], v[58:59], v[156:157]
	v_add_f64 v[46:47], v[56:57], v[158:159]
	;; [unrolled: 1-line block ×3, first 2 shown]
	v_mov_b32_e32 v93, 4
	v_mul_u32_u24_e32 v56, 0xf0, v174
	v_lshlrev_b32_sdwa v57, v93, v175 dst_sel:DWORD dst_unused:UNUSED_PAD src0_sel:DWORD src1_sel:BYTE_0
	v_fma_f64 v[48:49], v[60:61], s[4:5], v[62:63]
	v_fma_f64 v[52:53], v[60:61], s[4:5], v[68:69]
	v_add3_u32 v92, 0, v56, v57
	ds_read_b128 v[56:59], v164 offset:2000
	ds_read_b128 v[60:63], v164 offset:4000
	v_fma_f64 v[34:35], v[50:51], s[4:5], v[54:55]
	v_fma_f64 v[50:51], v[64:65], s[4:5], v[66:67]
	;; [unrolled: 1-line block ×3, first 2 shown]
	ds_read_b128 v[64:67], v164 offset:6000
	ds_read_b128 v[68:71], v164 offset:8000
	s_waitcnt lgkmcnt(0)
	s_barrier
	ds_write_b128 v92, v[44:47]
	ds_write_b128 v92, v[40:43] offset:48
	v_fma_f64 v[40:41], v[80:81], -0.5, v[56:57]
	v_add_f64 v[44:45], v[122:123], -v[114:115]
	v_fma_f64 v[42:43], v[100:101], -0.5, v[58:59]
	v_add_f64 v[46:47], v[120:121], -v[112:113]
	ds_write_b128 v92, v[48:51] offset:96
	v_add_f64 v[48:49], v[120:121], -v[108:109]
	v_add_f64 v[50:51], v[112:113], -v[116:117]
	;; [unrolled: 1-line block ×4, first 2 shown]
	v_fma_f64 v[102:103], v[44:45], s[10:11], v[40:41]
	v_add_f64 v[104:105], v[114:115], -v[118:119]
	v_add_f64 v[106:107], v[108:109], -v[116:117]
	v_fma_f64 v[124:125], v[46:47], s[14:15], v[42:43]
	v_fma_f64 v[40:41], v[44:45], s[14:15], v[40:41]
	ds_write_b128 v92, v[52:55] offset:144
	ds_write_b128 v92, v[32:35] offset:192
	v_add_f64 v[48:49], v[48:49], v[50:51]
	v_fma_f64 v[32:33], v[100:101], s[6:7], v[102:103]
	v_add_f64 v[34:35], v[120:121], v[112:113]
	v_add_f64 v[50:51], v[80:81], v[104:105]
	v_fma_f64 v[52:53], v[106:107], s[12:13], v[124:125]
	v_fma_f64 v[40:41], v[100:101], s[12:13], v[40:41]
	v_add_f64 v[54:55], v[122:123], v[114:115]
	v_add_f64 v[80:81], v[56:57], v[108:109]
	;; [unrolled: 1-line block ×3, first 2 shown]
	v_fma_f64 v[32:33], v[48:49], s[4:5], v[32:33]
	v_fma_f64 v[56:57], v[34:35], -0.5, v[56:57]
	v_fma_f64 v[42:43], v[46:47], s[10:11], v[42:43]
	v_fma_f64 v[34:35], v[50:51], s[4:5], v[52:53]
	;; [unrolled: 1-line block ×3, first 2 shown]
	v_fma_f64 v[48:49], v[54:55], -0.5, v[58:59]
	v_add_f64 v[52:53], v[80:81], v[120:121]
	v_add_f64 v[80:81], v[102:103], v[122:123]
	v_add_f64 v[54:55], v[108:109], -v[120:121]
	v_fma_f64 v[58:59], v[100:101], s[14:15], v[56:57]
	v_add_f64 v[102:103], v[116:117], -v[112:113]
	v_add_f64 v[104:105], v[110:111], -v[122:123]
	;; [unrolled: 1-line block ×3, first 2 shown]
	v_fma_f64 v[110:111], v[106:107], s[10:11], v[48:49]
	v_fma_f64 v[56:57], v[100:101], s[10:11], v[56:57]
	;; [unrolled: 1-line block ×3, first 2 shown]
	v_add_f64 v[80:81], v[80:81], v[114:115]
	v_fma_f64 v[42:43], v[106:107], s[6:7], v[42:43]
	v_add_f64 v[52:53], v[52:53], v[112:113]
	v_add_f64 v[54:55], v[54:55], v[102:103]
	v_fma_f64 v[58:59], v[44:45], s[6:7], v[58:59]
	v_add_f64 v[100:101], v[104:105], v[108:109]
	v_fma_f64 v[102:103], v[46:47], s[12:13], v[110:111]
	v_fma_f64 v[56:57], v[44:45], s[12:13], v[56:57]
	v_fma_f64 v[104:105], v[46:47], s[6:7], v[48:49]
	v_add_f64 v[46:47], v[80:81], v[118:119]
	v_add_f64 v[80:81], v[98:99], v[72:73]
	v_fma_f64 v[42:43], v[50:51], s[4:5], v[42:43]
	v_add_f64 v[44:45], v[52:53], v[116:117]
	v_fma_f64 v[48:49], v[54:55], s[4:5], v[58:59]
	v_fma_f64 v[50:51], v[100:101], s[4:5], v[102:103]
	v_fma_f64 v[52:53], v[54:55], s[4:5], v[56:57]
	v_fma_f64 v[54:55], v[100:101], s[4:5], v[104:105]
	v_add_f64 v[100:101], v[84:85], -v[78:79]
	v_fma_f64 v[80:81], v[80:81], -0.5, v[62:63]
	v_add_f64 v[106:107], v[74:75], -v[98:99]
	v_add_f64 v[108:109], v[86:87], -v[72:73]
	;; [unrolled: 1-line block ×3, first 2 shown]
	v_mul_u32_u24_e32 v56, 0xf0, v178
	v_lshlrev_b32_sdwa v57, v93, v179 dst_sel:DWORD dst_unused:UNUSED_PAD src0_sel:DWORD src1_sel:BYTE_0
	v_add3_u32 v92, 0, v56, v57
	v_add_f64 v[58:59], v[96:97], v[88:89]
	v_fma_f64 v[116:117], v[100:101], s[14:15], v[80:81]
	ds_write_b128 v92, v[44:47]
	ds_write_b128 v92, v[48:51] offset:48
	ds_write_b128 v92, v[32:35] offset:96
	v_add_f64 v[46:47], v[106:107], v[108:109]
	v_add_f64 v[34:35], v[84:85], v[78:79]
	;; [unrolled: 1-line block ×3, first 2 shown]
	v_add_f64 v[110:111], v[98:99], -v[72:73]
	ds_write_b128 v92, v[40:43] offset:144
	v_fma_f64 v[56:57], v[58:59], -0.5, v[60:61]
	v_fma_f64 v[48:49], v[114:115], s[12:13], v[116:117]
	v_add_f64 v[58:59], v[74:75], -v[86:87]
	v_add_f64 v[40:41], v[60:61], v[96:97]
	ds_write_b128 v92, v[52:55] offset:192
	v_fma_f64 v[52:53], v[34:35], -0.5, v[60:61]
	v_add_f64 v[102:103], v[84:85], -v[96:97]
	v_add_f64 v[104:105], v[78:79], -v[88:89]
	;; [unrolled: 1-line block ×3, first 2 shown]
	v_fma_f64 v[34:35], v[46:47], s[4:5], v[48:49]
	v_fma_f64 v[48:49], v[50:51], -0.5, v[62:63]
	v_add_f64 v[50:51], v[62:63], v[98:99]
	v_fma_f64 v[112:113], v[58:59], s[10:11], v[56:57]
	v_fma_f64 v[42:43], v[58:59], s[14:15], v[56:57]
	v_add_f64 v[40:41], v[40:41], v[84:85]
	v_fma_f64 v[56:57], v[100:101], s[10:11], v[80:81]
	v_fma_f64 v[60:61], v[110:111], s[14:15], v[52:53]
	;; [unrolled: 1-line block ×3, first 2 shown]
	v_add_f64 v[62:63], v[88:89], -v[78:79]
	v_add_f64 v[50:51], v[50:51], v[74:75]
	v_add_f64 v[74:75], v[98:99], -v[74:75]
	v_add_f64 v[80:81], v[72:73], -v[86:87]
	v_fma_f64 v[84:85], v[114:115], s[10:11], v[48:49]
	v_fma_f64 v[48:49], v[114:115], s[14:15], v[48:49]
	v_add_f64 v[44:45], v[102:103], v[104:105]
	v_fma_f64 v[42:43], v[110:111], s[12:13], v[42:43]
	v_fma_f64 v[56:57], v[114:115], s[6:7], v[56:57]
	v_add_f64 v[54:55], v[54:55], v[62:63]
	v_add_f64 v[50:51], v[50:51], v[86:87]
	v_fma_f64 v[60:61], v[58:59], s[6:7], v[60:61]
	v_add_f64 v[62:63], v[74:75], v[80:81]
	v_fma_f64 v[74:75], v[100:101], s[12:13], v[84:85]
	v_fma_f64 v[52:53], v[58:59], s[12:13], v[52:53]
	;; [unrolled: 1-line block ×3, first 2 shown]
	v_add_f64 v[78:79], v[40:41], v[78:79]
	v_fma_f64 v[40:41], v[44:45], s[4:5], v[42:43]
	v_fma_f64 v[42:43], v[46:47], s[4:5], v[56:57]
	v_add_f64 v[46:47], v[50:51], v[72:73]
	v_fma_f64 v[48:49], v[54:55], s[4:5], v[60:61]
	v_fma_f64 v[50:51], v[62:63], s[4:5], v[74:75]
	;; [unrolled: 1-line block ×4, first 2 shown]
	v_add_f64 v[58:59], v[76:77], v[188:189]
	v_mul_u32_u24_e32 v60, 0xf0, v172
	v_lshlrev_b32_e32 v61, 4, v173
	v_fma_f64 v[32:33], v[110:111], s[6:7], v[112:113]
	v_add3_u32 v84, 0, v60, v61
	ds_write_b128 v84, v[48:51] offset:48
	v_add_f64 v[50:51], v[82:83], -v[182:183]
	v_add_f64 v[56:57], v[90:91], v[186:187]
	v_fma_f64 v[48:49], v[58:59], -0.5, v[66:67]
	v_add_f64 v[60:61], v[94:95], -v[76:77]
	v_add_f64 v[74:75], v[184:185], -v[188:189]
	v_fma_f64 v[32:33], v[44:45], s[4:5], v[32:33]
	v_add_f64 v[44:45], v[78:79], v[88:89]
	v_add_f64 v[78:79], v[90:91], -v[186:187]
	v_add_f64 v[58:59], v[182:183], -v[186:187]
	;; [unrolled: 1-line block ×3, first 2 shown]
	v_fma_f64 v[80:81], v[50:51], s[14:15], v[48:49]
	v_fma_f64 v[48:49], v[50:51], s[10:11], v[48:49]
	ds_write_b128 v84, v[44:47]
	v_fma_f64 v[44:45], v[56:57], -0.5, v[64:65]
	v_add_f64 v[56:57], v[82:83], -v[90:91]
	ds_write_b128 v84, v[32:35] offset:96
	ds_write_b128 v84, v[40:43] offset:144
	;; [unrolled: 1-line block ×3, first 2 shown]
	v_add_f64 v[34:35], v[82:83], v[182:183]
	v_add_f64 v[46:47], v[94:95], -v[184:185]
	v_add_f64 v[42:43], v[60:61], v[74:75]
	v_fma_f64 v[52:53], v[78:79], s[12:13], v[80:81]
	v_add_f64 v[54:55], v[94:95], v[184:185]
	v_add_f64 v[60:61], v[66:67], v[76:77]
	;; [unrolled: 1-line block ×4, first 2 shown]
	v_fma_f64 v[58:59], v[34:35], -0.5, v[64:65]
	v_fma_f64 v[72:73], v[46:47], s[10:11], v[44:45]
	v_fma_f64 v[44:45], v[46:47], s[14:15], v[44:45]
	;; [unrolled: 1-line block ×3, first 2 shown]
	v_fma_f64 v[52:53], v[54:55], -0.5, v[66:67]
	v_add_f64 v[60:61], v[60:61], v[94:95]
	v_add_f64 v[66:67], v[186:187], -v[182:183]
	v_add_f64 v[54:55], v[56:57], v[82:83]
	v_add_f64 v[56:57], v[90:91], -v[82:83]
	v_fma_f64 v[64:65], v[62:63], s[14:15], v[58:59]
	v_fma_f64 v[58:59], v[62:63], s[10:11], v[58:59]
	;; [unrolled: 1-line block ×3, first 2 shown]
	v_add_f64 v[72:73], v[76:77], -v[94:95]
	v_add_f64 v[74:75], v[188:189], -v[184:185]
	v_fma_f64 v[76:77], v[78:79], s[10:11], v[52:53]
	v_fma_f64 v[52:53], v[78:79], s[14:15], v[52:53]
	v_fma_f64 v[44:45], v[62:63], s[12:13], v[44:45]
	v_fma_f64 v[48:49], v[78:79], s[6:7], v[48:49]
	v_add_f64 v[54:55], v[54:55], v[182:183]
	v_add_f64 v[60:61], v[60:61], v[184:185]
	;; [unrolled: 1-line block ×3, first 2 shown]
	v_fma_f64 v[62:63], v[46:47], s[6:7], v[64:65]
	v_fma_f64 v[58:59], v[46:47], s[12:13], v[58:59]
	v_add_f64 v[64:65], v[72:73], v[74:75]
	v_fma_f64 v[66:67], v[50:51], s[12:13], v[76:77]
	v_fma_f64 v[72:73], v[50:51], s[6:7], v[52:53]
	;; [unrolled: 1-line block ×5, first 2 shown]
	v_add_f64 v[44:45], v[54:55], v[186:187]
	v_add_f64 v[46:47], v[60:61], v[188:189]
	v_fma_f64 v[48:49], v[56:57], s[4:5], v[62:63]
	v_fma_f64 v[52:53], v[56:57], s[4:5], v[58:59]
	v_add_f64 v[56:57], v[26:27], v[16:17]
	v_add_f64 v[58:59], v[20:21], v[18:19]
	v_fma_f64 v[50:51], v[64:65], s[4:5], v[66:67]
	v_mul_u32_u24_e32 v60, 0xf0, v181
	v_lshlrev_b32_e32 v61, 4, v180
	v_fma_f64 v[54:55], v[64:65], s[4:5], v[72:73]
	v_add3_u32 v72, 0, v60, v61
	ds_write_b128 v72, v[44:47]
	ds_write_b128 v72, v[48:51] offset:48
	v_fma_f64 v[44:45], v[56:57], -0.5, v[68:69]
	v_add_f64 v[46:47], v[28:29], -v[22:23]
	ds_write_b128 v72, v[32:35] offset:96
	v_fma_f64 v[32:33], v[58:59], -0.5, v[70:71]
	v_add_f64 v[48:49], v[30:31], -v[24:25]
	v_add_f64 v[34:35], v[30:31], -v[26:27]
	;; [unrolled: 1-line block ×5, first 2 shown]
	v_fma_f64 v[60:61], v[46:47], s[10:11], v[44:45]
	v_add_f64 v[62:63], v[22:23], -v[18:19]
	v_add_f64 v[64:65], v[26:27], -v[16:17]
	v_fma_f64 v[66:67], v[48:49], s[14:15], v[32:33]
	ds_write_b128 v72, v[40:43] offset:144
	v_fma_f64 v[40:41], v[46:47], s[14:15], v[44:45]
	v_add_f64 v[44:45], v[30:31], v[24:25]
	ds_write_b128 v72, v[52:55] offset:192
	v_add_f64 v[42:43], v[34:35], v[50:51]
	v_fma_f64 v[34:35], v[58:59], s[6:7], v[60:61]
	v_add_f64 v[50:51], v[56:57], v[62:63]
	v_fma_f64 v[52:53], v[64:65], s[12:13], v[66:67]
	v_fma_f64 v[54:55], v[48:49], s[10:11], v[32:33]
	;; [unrolled: 1-line block ×3, first 2 shown]
	v_add_f64 v[56:57], v[28:29], v[22:23]
	v_add_f64 v[60:61], v[68:69], v[26:27]
	;; [unrolled: 1-line block ×3, first 2 shown]
	v_fma_f64 v[44:45], v[44:45], -0.5, v[68:69]
	v_fma_f64 v[32:33], v[42:43], s[4:5], v[34:35]
	v_fma_f64 v[34:35], v[50:51], s[4:5], v[52:53]
	;; [unrolled: 1-line block ×4, first 2 shown]
	v_fma_f64 v[42:43], v[56:57], -0.5, v[70:71]
	v_add_f64 v[54:55], v[60:61], v[30:31]
	v_add_f64 v[56:57], v[62:63], v[28:29]
	v_add_f64 v[26:27], v[26:27], -v[30:31]
	v_fma_f64 v[30:31], v[58:59], s[14:15], v[44:45]
	v_add_f64 v[60:61], v[16:17], -v[24:25]
	v_fma_f64 v[44:45], v[58:59], s[10:11], v[44:45]
	v_add_f64 v[20:21], v[20:21], -v[28:29]
	v_add_f64 v[28:29], v[18:19], -v[22:23]
	v_fma_f64 v[62:63], v[64:65], s[10:11], v[42:43]
	v_add_f64 v[24:25], v[54:55], v[24:25]
	v_fma_f64 v[54:55], v[64:65], s[14:15], v[42:43]
	v_add_f64 v[22:23], v[56:57], v[22:23]
	v_add_f64 v[26:27], v[26:27], v[60:61]
	v_fma_f64 v[44:45], v[46:47], s[12:13], v[44:45]
	v_fma_f64 v[30:31], v[46:47], s[6:7], v[30:31]
	v_add_f64 v[28:29], v[20:21], v[28:29]
	v_fma_f64 v[56:57], v[48:49], s[12:13], v[62:63]
	v_add_f64 v[16:17], v[24:25], v[16:17]
	;; [unrolled: 2-line block ×3, first 2 shown]
	v_fma_f64 v[42:43], v[50:51], s[4:5], v[52:53]
	v_fma_f64 v[24:25], v[26:27], s[4:5], v[44:45]
	v_add_f64 v[44:45], v[4:5], v[2:3]
	v_fma_f64 v[20:21], v[26:27], s[4:5], v[30:31]
	v_fma_f64 v[22:23], v[28:29], s[4:5], v[56:57]
	v_add_f64 v[30:31], v[8:9], v[0:1]
	v_fma_f64 v[26:27], v[28:29], s[4:5], v[46:47]
	v_mul_u32_u24_e32 v28, 0xf0, v176
	v_lshlrev_b32_e32 v29, 4, v177
	v_add3_u32 v60, 0, v28, v29
	ds_write_b128 v60, v[16:19]
	v_add_f64 v[16:17], v[14:15], -v[8:9]
	v_add_f64 v[18:19], v[10:11], -v[0:1]
	v_fma_f64 v[44:45], v[44:45], -0.5, v[38:39]
	v_add_f64 v[46:47], v[14:15], -v[10:11]
	v_fma_f64 v[28:29], v[30:31], -0.5, v[36:37]
	v_add_f64 v[30:31], v[12:13], -v[6:7]
	ds_write_b128 v60, v[20:23] offset:48
	ds_write_b128 v60, v[32:35] offset:96
	ds_write_b128 v60, v[40:43] offset:144
	ds_write_b128 v60, v[24:27] offset:192
	v_add_f64 v[26:27], v[12:13], v[6:7]
	v_add_f64 v[20:21], v[16:17], v[18:19]
	;; [unrolled: 1-line block ×3, first 2 shown]
	v_add_f64 v[48:49], v[12:13], -v[4:5]
	v_add_f64 v[54:55], v[6:7], -v[2:3]
	;; [unrolled: 1-line block ×3, first 2 shown]
	v_fma_f64 v[58:59], v[46:47], s[14:15], v[44:45]
	v_fma_f64 v[52:53], v[30:31], s[10:11], v[28:29]
	;; [unrolled: 1-line block ×3, first 2 shown]
	v_add_f64 v[28:29], v[36:37], v[8:9]
	v_fma_f64 v[34:35], v[18:19], -0.5, v[36:37]
	v_add_f64 v[36:37], v[38:39], v[4:5]
	v_add_f64 v[50:51], v[4:5], -v[2:3]
	v_fma_f64 v[26:27], v[26:27], -0.5, v[38:39]
	v_add_f64 v[22:23], v[48:49], v[54:55]
	v_fma_f64 v[32:33], v[56:57], s[12:13], v[58:59]
	v_add_f64 v[8:9], v[8:9], -v[14:15]
	v_add_f64 v[28:29], v[28:29], v[14:15]
	v_add_f64 v[38:39], v[0:1], -v[10:11]
	v_add_f64 v[36:37], v[36:37], v[12:13]
	v_fma_f64 v[14:15], v[50:51], s[14:15], v[34:35]
	v_add_f64 v[4:5], v[4:5], -v[12:13]
	v_add_f64 v[12:13], v[2:3], -v[6:7]
	v_fma_f64 v[40:41], v[56:57], s[10:11], v[26:27]
	v_fma_f64 v[18:19], v[22:23], s[4:5], v[32:33]
	;; [unrolled: 1-line block ×5, first 2 shown]
	v_add_f64 v[10:11], v[28:29], v[10:11]
	v_add_f64 v[6:7], v[36:37], v[6:7]
	;; [unrolled: 1-line block ×3, first 2 shown]
	v_fma_f64 v[8:9], v[30:31], s[6:7], v[14:15]
	v_add_f64 v[14:15], v[4:5], v[12:13]
	v_fma_f64 v[12:13], v[46:47], s[12:13], v[40:41]
	v_fma_f64 v[16:17], v[50:51], s[6:7], v[52:53]
	;; [unrolled: 1-line block ×6, first 2 shown]
	v_add_f64 v[0:1], v[10:11], v[0:1]
	v_add_f64 v[2:3], v[6:7], v[2:3]
	v_fma_f64 v[8:9], v[28:29], s[4:5], v[8:9]
	v_fma_f64 v[10:11], v[14:15], s[4:5], v[12:13]
	;; [unrolled: 1-line block ×7, first 2 shown]
	v_mul_u32_u24_e32 v20, 0xf0, v170
	v_lshlrev_b32_e32 v21, 4, v171
	v_add3_u32 v20, 0, v20, v21
	ds_write_b128 v20, v[0:3]
	ds_write_b128 v20, v[8:11] offset:48
	ds_write_b128 v20, v[16:19] offset:96
	;; [unrolled: 1-line block ×4, first 2 shown]
	v_mul_lo_u16_sdwa v0, v160, s16 dst_sel:DWORD dst_unused:UNUSED_PAD src0_sel:BYTE_0 src1_sel:DWORD
	v_lshrrev_b16_e32 v61, 11, v0
	v_mul_lo_u16_e32 v0, 15, v61
	v_sub_u16_e32 v62, v160, v0
	v_lshlrev_b32_sdwa v16, v169, v62 dst_sel:DWORD dst_unused:UNUSED_PAD src0_sel:DWORD src1_sel:BYTE_0
	s_waitcnt lgkmcnt(0)
	s_barrier
	global_load_dwordx4 v[4:7], v16, s[8:9] offset:192
	global_load_dwordx4 v[0:3], v16, s[8:9] offset:208
	global_load_dwordx4 v[8:11], v16, s[8:9] offset:224
	global_load_dwordx4 v[12:15], v16, s[8:9] offset:240
	v_mul_lo_u16_sdwa v16, v167, s16 dst_sel:DWORD dst_unused:UNUSED_PAD src0_sel:BYTE_0 src1_sel:DWORD
	v_lshrrev_b16_e32 v59, 11, v16
	v_mul_lo_u16_e32 v16, 15, v59
	v_sub_u16_e32 v60, v167, v16
	v_lshlrev_b32_sdwa v32, v169, v60 dst_sel:DWORD dst_unused:UNUSED_PAD src0_sel:DWORD src1_sel:BYTE_0
	global_load_dwordx4 v[16:19], v32, s[8:9] offset:192
	global_load_dwordx4 v[20:23], v32, s[8:9] offset:208
	;; [unrolled: 1-line block ×4, first 2 shown]
	s_mov_b32 s16, 0x8889
	v_mul_u32_u24_sdwa v32, v168, s16 dst_sel:DWORD dst_unused:UNUSED_PAD src0_sel:WORD_0 src1_sel:DWORD
	v_lshrrev_b32_e32 v57, 19, v32
	v_mul_lo_u16_e32 v32, 15, v57
	v_sub_u16_e32 v58, v168, v32
	v_lshlrev_b32_e32 v48, 6, v58
	global_load_dwordx4 v[32:35], v48, s[8:9] offset:192
	global_load_dwordx4 v[36:39], v48, s[8:9] offset:208
	;; [unrolled: 1-line block ×4, first 2 shown]
	ds_read_b128 v[52:55], v164 offset:12000
	v_mul_u32_u24_sdwa v48, v161, s16 dst_sel:DWORD dst_unused:UNUSED_PAD src0_sel:WORD_0 src1_sel:DWORD
	v_lshrrev_b32_e32 v56, 19, v48
	ds_read_b128 v[48:51], v164 offset:10000
	v_mul_lo_u16_e32 v63, 15, v56
	v_sub_u16_e32 v63, v161, v63
	v_lshlrev_b32_e32 v92, 6, v63
	global_load_dwordx4 v[64:67], v92, s[8:9] offset:192
	global_load_dwordx4 v[68:71], v92, s[8:9] offset:208
	ds_read_b128 v[72:75], v164 offset:24000
	ds_read_b128 v[76:79], v164 offset:36000
	;; [unrolled: 1-line block ×3, first 2 shown]
	v_mul_u32_u24_e32 v61, 0x4b0, v61
	v_lshlrev_b32_sdwa v62, v93, v62 dst_sel:DWORD dst_unused:UNUSED_PAD src0_sel:DWORD src1_sel:BYTE_0
	v_mul_u32_u24_e32 v59, 0x4b0, v59
	v_lshlrev_b32_sdwa v60, v93, v60 dst_sel:DWORD dst_unused:UNUSED_PAD src0_sel:DWORD src1_sel:BYTE_0
	v_mul_u32_u24_e32 v57, 0x4b0, v57
	v_lshlrev_b32_e32 v58, 4, v58
	v_mul_u32_u24_e32 v56, 0x4b0, v56
	v_lshlrev_b32_e32 v63, 4, v63
	v_add3_u32 v56, 0, v56, v63
	s_waitcnt vmcnt(13) lgkmcnt(4)
	v_mul_f64 v[80:81], v[54:55], v[6:7]
	v_mul_f64 v[6:7], v[52:53], v[6:7]
	s_waitcnt vmcnt(11) lgkmcnt(1)
	v_mul_f64 v[132:133], v[78:79], v[10:11]
	v_mul_f64 v[10:11], v[76:77], v[10:11]
	v_fma_f64 v[138:139], v[52:53], v[4:5], -v[80:81]
	ds_read_b128 v[80:83], v164 offset:22000
	v_mul_f64 v[52:53], v[74:75], v[2:3]
	v_fma_f64 v[140:141], v[54:55], v[4:5], v[6:7]
	v_mul_u32_u24_sdwa v6, v165, s16 dst_sel:DWORD dst_unused:UNUSED_PAD src0_sel:WORD_0 src1_sel:DWORD
	v_lshrrev_b32_e32 v54, 19, v6
	v_mul_lo_u16_e32 v6, 15, v54
	v_sub_u16_e32 v55, v165, v6
	v_mul_f64 v[130:131], v[72:73], v[2:3]
	global_load_dwordx4 v[2:5], v92, s[8:9] offset:224
	global_load_dwordx4 v[88:91], v92, s[8:9] offset:240
	v_lshlrev_b32_e32 v92, 6, v55
	global_load_dwordx4 v[98:101], v92, s[8:9] offset:192
	ds_read_b128 v[94:97], v164 offset:48000
	ds_read_b128 v[102:105], v164 offset:46000
	;; [unrolled: 1-line block ×3, first 2 shown]
	v_fma_f64 v[142:143], v[72:73], v[0:1], -v[52:53]
	v_mul_u32_u24_sdwa v52, v166, s16 dst_sel:DWORD dst_unused:UNUSED_PAD src0_sel:WORD_0 src1_sel:DWORD
	v_lshrrev_b32_e32 v52, 19, v52
	v_mul_lo_u16_e32 v53, 15, v52
	v_sub_u16_e32 v53, v166, v53
	ds_read_b128 v[110:113], v164 offset:16000
	global_load_dwordx4 v[114:117], v92, s[8:9] offset:208
	global_load_dwordx4 v[118:121], v92, s[8:9] offset:224
	;; [unrolled: 1-line block ×3, first 2 shown]
	v_lshlrev_b32_e32 v92, 6, v53
	s_waitcnt vmcnt(15) lgkmcnt(1)
	v_mul_f64 v[72:73], v[108:109], v[18:19]
	global_load_dwordx4 v[126:129], v92, s[8:9] offset:192
	v_mul_f64 v[6:7], v[96:97], v[14:15]
	v_mul_f64 v[14:15], v[94:95], v[14:15]
	v_fma_f64 v[144:145], v[74:75], v[0:1], v[130:131]
	v_mul_f64 v[0:1], v[106:107], v[18:19]
	v_fma_f64 v[146:147], v[76:77], v[8:9], -v[132:133]
	v_fma_f64 v[148:149], v[78:79], v[8:9], v[10:11]
	v_fma_f64 v[154:155], v[106:107], v[16:17], -v[72:73]
	global_load_dwordx4 v[72:75], v92, s[8:9] offset:224
	v_fma_f64 v[150:151], v[94:95], v[12:13], -v[6:7]
	global_load_dwordx4 v[6:9], v92, s[8:9] offset:208
	v_fma_f64 v[152:153], v[96:97], v[12:13], v[14:15]
	ds_read_b128 v[10:13], v164 offset:26000
	v_fma_f64 v[156:157], v[108:109], v[16:17], v[0:1]
	ds_read_b128 v[14:17], v164 offset:28000
	ds_read_b128 v[76:79], v164 offset:38000
	;; [unrolled: 1-line block ×4, first 2 shown]
	global_load_dwordx4 v[134:137], v92, s[8:9] offset:240
	s_waitcnt vmcnt(18) lgkmcnt(4)
	v_mul_f64 v[0:1], v[12:13], v[22:23]
	v_mul_f64 v[18:19], v[10:11], v[22:23]
	s_waitcnt vmcnt(16) lgkmcnt(1)
	v_mul_f64 v[158:159], v[96:97], v[30:31]
	ds_read_b128 v[130:133], v164 offset:52000
	v_mul_f64 v[22:23], v[78:79], v[26:27]
	v_mul_f64 v[26:27], v[76:77], v[26:27]
	v_add3_u32 v92, 0, v61, v62
	s_movk_i32 s16, 0x4b
	v_fma_f64 v[169:170], v[10:11], v[20:21], -v[0:1]
	v_mul_f64 v[0:1], v[94:95], v[30:31]
	v_fma_f64 v[171:172], v[12:13], v[20:21], v[18:19]
	s_waitcnt vmcnt(15)
	v_mul_f64 v[10:11], v[112:113], v[34:35]
	v_mul_f64 v[12:13], v[110:111], v[34:35]
	s_waitcnt vmcnt(14)
	v_mul_f64 v[18:19], v[16:17], v[38:39]
	v_fma_f64 v[94:95], v[94:95], v[28:29], -v[158:159]
	v_fma_f64 v[173:174], v[76:77], v[24:25], -v[22:23]
	v_fma_f64 v[175:176], v[78:79], v[24:25], v[26:27]
	v_fma_f64 v[96:97], v[96:97], v[28:29], v[0:1]
	v_mul_f64 v[0:1], v[14:15], v[38:39]
	v_fma_f64 v[110:111], v[110:111], v[32:33], -v[10:11]
	v_fma_f64 v[112:113], v[112:113], v[32:33], v[12:13]
	ds_read_b128 v[10:13], v164 offset:18000
	v_fma_f64 v[158:159], v[14:15], v[36:37], -v[18:19]
	s_waitcnt vmcnt(12) lgkmcnt(1)
	v_mul_f64 v[14:15], v[132:133], v[46:47]
	v_mul_f64 v[22:23], v[108:109], v[42:43]
	;; [unrolled: 1-line block ×3, first 2 shown]
	s_waitcnt vmcnt(11) lgkmcnt(0)
	v_mul_f64 v[28:29], v[12:13], v[66:67]
	v_mul_f64 v[30:31], v[10:11], v[66:67]
	;; [unrolled: 1-line block ×3, first 2 shown]
	ds_read_b128 v[18:21], v164 offset:20000
	v_fma_f64 v[177:178], v[16:17], v[36:37], v[0:1]
	v_fma_f64 v[130:131], v[130:131], v[44:45], -v[14:15]
	ds_read_b128 v[14:17], v164 offset:30000
	v_fma_f64 v[106:107], v[106:107], v[40:41], -v[22:23]
	v_fma_f64 v[108:109], v[108:109], v[40:41], v[24:25]
	v_fma_f64 v[179:180], v[10:11], v[64:65], -v[28:29]
	v_fma_f64 v[181:182], v[12:13], v[64:65], v[30:31]
	ds_read_b128 v[10:13], v164 offset:32000
	ds_read_b128 v[22:25], v164 offset:42000
	s_waitcnt vmcnt(10) lgkmcnt(2)
	v_mul_f64 v[0:1], v[16:17], v[70:71]
	v_fma_f64 v[132:133], v[132:133], v[44:45], v[26:27]
	ds_read_b128 v[26:29], v164 offset:54000
	ds_read_b128 v[32:35], v164 offset:44000
	v_mul_f64 v[30:31], v[14:15], v[70:71]
	ds_read_b128 v[36:39], v164 offset:56000
	v_add_f64 v[64:65], v[138:139], -v[142:143]
	v_add_f64 v[66:67], v[150:151], -v[146:147]
	;; [unrolled: 1-line block ×3, first 2 shown]
	v_add_f64 v[61:62], v[154:155], v[94:95]
	v_cmp_gt_u32_e32 vcc, s16, v160
	s_waitcnt vmcnt(9) lgkmcnt(3)
	v_mul_f64 v[40:41], v[24:25], v[4:5]
	v_mul_f64 v[4:5], v[22:23], v[4:5]
	s_waitcnt vmcnt(8) lgkmcnt(2)
	v_mul_f64 v[42:43], v[28:29], v[90:91]
	s_waitcnt vmcnt(7)
	v_mul_f64 v[46:47], v[20:21], v[100:101]
	v_mul_f64 v[44:45], v[26:27], v[90:91]
	v_fma_f64 v[90:91], v[14:15], v[68:69], -v[0:1]
	v_mul_f64 v[0:1], v[18:19], v[100:101]
	v_fma_f64 v[183:184], v[16:17], v[68:69], v[30:31]
	v_fma_f64 v[185:186], v[22:23], v[2:3], -v[40:41]
	v_fma_f64 v[100:101], v[24:25], v[2:3], v[4:5]
	v_fma_f64 v[187:188], v[26:27], v[88:89], -v[42:43]
	v_fma_f64 v[26:27], v[18:19], v[98:99], -v[46:47]
	s_waitcnt vmcnt(6)
	v_mul_f64 v[2:3], v[12:13], v[116:117]
	v_mul_f64 v[4:5], v[10:11], v[116:117]
	s_waitcnt vmcnt(4) lgkmcnt(0)
	v_mul_f64 v[16:17], v[38:39], v[124:125]
	v_mul_f64 v[18:19], v[36:37], v[124:125]
	s_waitcnt vmcnt(3)
	v_mul_f64 v[40:41], v[82:83], v[128:129]
	v_mul_f64 v[14:15], v[34:35], v[120:121]
	v_fma_f64 v[20:21], v[20:21], v[98:99], v[0:1]
	v_mul_f64 v[0:1], v[32:33], v[120:121]
	v_fma_f64 v[88:89], v[28:29], v[88:89], v[44:45]
	v_fma_f64 v[30:31], v[10:11], v[114:115], -v[2:3]
	v_fma_f64 v[28:29], v[12:13], v[114:115], v[4:5]
	v_mul_f64 v[2:3], v[80:81], v[128:129]
	v_fma_f64 v[16:17], v[36:37], v[122:123], -v[16:17]
	v_fma_f64 v[18:19], v[38:39], v[122:123], v[18:19]
	v_fma_f64 v[4:5], v[80:81], v[126:127], -v[40:41]
	s_waitcnt vmcnt(2)
	v_mul_f64 v[36:37], v[104:105], v[74:75]
	v_add_f64 v[38:39], v[142:143], v[146:147]
	v_add_f64 v[40:41], v[144:145], v[148:149]
	v_fma_f64 v[22:23], v[32:33], v[118:119], -v[14:15]
	v_fma_f64 v[24:25], v[34:35], v[118:119], v[0:1]
	s_waitcnt vmcnt(1)
	v_mul_f64 v[12:13], v[86:87], v[8:9]
	v_mul_f64 v[14:15], v[84:85], v[8:9]
	ds_read_b128 v[8:11], v164 offset:58000
	ds_read_b128 v[32:35], v164
	v_fma_f64 v[0:1], v[82:83], v[126:127], v[2:3]
	v_fma_f64 v[2:3], v[102:103], v[72:73], -v[36:37]
	v_add_f64 v[42:43], v[140:141], -v[152:153]
	v_add_f64 v[44:45], v[138:139], -v[150:151]
	s_waitcnt lgkmcnt(0)
	v_fma_f64 v[36:37], v[38:39], -0.5, v[32:33]
	v_fma_f64 v[40:41], v[40:41], -0.5, v[34:35]
	s_waitcnt vmcnt(0)
	v_mul_f64 v[46:47], v[8:9], v[136:137]
	v_fma_f64 v[12:13], v[84:85], v[6:7], -v[12:13]
	v_fma_f64 v[6:7], v[86:87], v[6:7], v[14:15]
	v_mul_f64 v[14:15], v[102:103], v[74:75]
	v_mul_f64 v[38:39], v[10:11], v[136:137]
	v_add_f64 v[68:69], v[140:141], -v[144:145]
	v_fma_f64 v[70:71], v[42:43], s[14:15], v[36:37]
	v_add_f64 v[74:75], v[144:145], -v[148:149]
	v_fma_f64 v[78:79], v[44:45], s[10:11], v[40:41]
	v_add_f64 v[80:81], v[142:143], -v[146:147]
	v_fma_f64 v[10:11], v[10:11], v[134:135], v[46:47]
	v_add_f64 v[46:47], v[64:65], v[66:67]
	v_add_f64 v[64:65], v[138:139], v[150:151]
	v_fma_f64 v[14:15], v[104:105], v[72:73], v[14:15]
	v_fma_f64 v[8:9], v[8:9], v[134:135], -v[38:39]
	v_fma_f64 v[38:39], v[74:75], s[6:7], v[70:71]
	v_add_f64 v[66:67], v[68:69], v[76:77]
	v_fma_f64 v[68:69], v[80:81], s[12:13], v[78:79]
	v_fma_f64 v[70:71], v[42:43], s[10:11], v[36:37]
	v_add_f64 v[72:73], v[140:141], v[152:153]
	v_add_f64 v[76:77], v[32:33], v[138:139]
	v_fma_f64 v[32:33], v[64:65], -0.5, v[32:33]
	v_add_f64 v[64:65], v[34:35], v[140:141]
	v_fma_f64 v[40:41], v[44:45], s[14:15], v[40:41]
	v_fma_f64 v[36:37], v[46:47], s[4:5], v[38:39]
	;; [unrolled: 1-line block ×4, first 2 shown]
	v_fma_f64 v[34:35], v[72:73], -0.5, v[34:35]
	v_add_f64 v[70:71], v[76:77], v[142:143]
	v_add_f64 v[72:73], v[142:143], -v[138:139]
	v_add_f64 v[64:65], v[64:65], v[144:145]
	v_fma_f64 v[76:77], v[74:75], s[10:11], v[32:33]
	v_add_f64 v[78:79], v[146:147], -v[150:151]
	v_fma_f64 v[32:33], v[74:75], s[14:15], v[32:33]
	v_fma_f64 v[40:41], v[80:81], s[6:7], v[40:41]
	v_add_f64 v[82:83], v[144:145], -v[140:141]
	v_add_f64 v[84:85], v[148:149], -v[152:153]
	v_fma_f64 v[86:87], v[80:81], s[14:15], v[34:35]
	v_fma_f64 v[34:35], v[80:81], s[10:11], v[34:35]
	v_add_f64 v[70:71], v[70:71], v[146:147]
	v_add_f64 v[64:65], v[64:65], v[148:149]
	;; [unrolled: 1-line block ×3, first 2 shown]
	v_fma_f64 v[74:75], v[42:43], s[6:7], v[76:77]
	v_fma_f64 v[80:81], v[42:43], s[12:13], v[32:33]
	v_add_f64 v[76:77], v[82:83], v[84:85]
	v_fma_f64 v[78:79], v[44:45], s[12:13], v[86:87]
	v_fma_f64 v[82:83], v[44:45], s[6:7], v[34:35]
	v_fma_f64 v[34:35], v[66:67], s[4:5], v[40:41]
	v_add_f64 v[40:41], v[70:71], v[150:151]
	v_add_f64 v[42:43], v[64:65], v[152:153]
	v_fma_f64 v[32:33], v[46:47], s[4:5], v[68:69]
	v_fma_f64 v[44:45], v[72:73], s[4:5], v[74:75]
	;; [unrolled: 1-line block ×3, first 2 shown]
	ds_read_b128 v[68:71], v164 offset:2000
	ds_read_b128 v[72:75], v164 offset:4000
	v_fma_f64 v[46:47], v[76:77], s[4:5], v[78:79]
	v_fma_f64 v[66:67], v[76:77], s[4:5], v[82:83]
	ds_read_b128 v[76:79], v164 offset:6000
	ds_read_b128 v[80:83], v164 offset:8000
	s_waitcnt lgkmcnt(0)
	v_add_f64 v[84:85], v[156:157], v[96:97]
	s_barrier
	ds_write_b128 v92, v[40:43]
	ds_write_b128 v92, v[36:39] offset:240
	v_fma_f64 v[36:37], v[61:62], -0.5, v[68:69]
	v_add_f64 v[40:41], v[171:172], -v[175:176]
	ds_write_b128 v92, v[44:47] offset:480
	v_add_f64 v[42:43], v[169:170], -v[173:174]
	v_fma_f64 v[38:39], v[84:85], -0.5, v[70:71]
	v_add_f64 v[44:45], v[169:170], -v[154:155]
	v_add_f64 v[46:47], v[173:174], -v[94:95]
	;; [unrolled: 1-line block ×4, first 2 shown]
	v_fma_f64 v[86:87], v[40:41], s[10:11], v[36:37]
	v_fma_f64 v[36:37], v[40:41], s[14:15], v[36:37]
	v_add_f64 v[98:99], v[175:176], -v[96:97]
	v_add_f64 v[102:103], v[154:155], -v[94:95]
	v_fma_f64 v[104:105], v[42:43], s[14:15], v[38:39]
	ds_write_b128 v92, v[64:67] offset:720
	ds_write_b128 v92, v[32:35] offset:960
	v_add_f64 v[44:45], v[44:45], v[46:47]
	v_fma_f64 v[32:33], v[84:85], s[6:7], v[86:87]
	v_add_f64 v[34:35], v[169:170], v[173:174]
	v_fma_f64 v[36:37], v[84:85], s[12:13], v[36:37]
	v_add_f64 v[64:65], v[171:172], v[175:176]
	v_add_f64 v[86:87], v[70:71], v[156:157]
	;; [unrolled: 1-line block ×3, first 2 shown]
	v_fma_f64 v[61:62], v[102:103], s[12:13], v[104:105]
	v_add_f64 v[66:67], v[68:69], v[154:155]
	v_fma_f64 v[32:33], v[44:45], s[4:5], v[32:33]
	v_fma_f64 v[68:69], v[34:35], -0.5, v[68:69]
	v_fma_f64 v[36:37], v[44:45], s[4:5], v[36:37]
	v_fma_f64 v[44:45], v[64:65], -0.5, v[70:71]
	v_add_f64 v[70:71], v[86:87], v[171:172]
	v_add_f64 v[64:65], v[154:155], -v[169:170]
	v_fma_f64 v[34:35], v[46:47], s[4:5], v[61:62]
	v_add_f64 v[61:62], v[66:67], v[169:170]
	v_add_f64 v[86:87], v[94:95], -v[173:174]
	v_fma_f64 v[66:67], v[84:85], s[14:15], v[68:69]
	v_add_f64 v[98:99], v[156:157], -v[171:172]
	v_add_f64 v[104:105], v[96:97], -v[175:176]
	v_fma_f64 v[114:115], v[102:103], s[10:11], v[44:45]
	v_fma_f64 v[68:69], v[84:85], s[10:11], v[68:69]
	v_fma_f64 v[44:45], v[102:103], s[14:15], v[44:45]
	v_add_f64 v[70:71], v[70:71], v[175:176]
	v_fma_f64 v[38:39], v[42:43], s[10:11], v[38:39]
	v_add_f64 v[64:65], v[64:65], v[86:87]
	v_fma_f64 v[66:67], v[40:41], s[6:7], v[66:67]
	;; [unrolled: 2-line block ×3, first 2 shown]
	v_fma_f64 v[68:69], v[40:41], s[12:13], v[68:69]
	v_fma_f64 v[98:99], v[42:43], s[6:7], v[44:45]
	v_add_f64 v[42:43], v[70:71], v[96:97]
	v_add_f64 v[70:71], v[112:113], v[132:133]
	v_fma_f64 v[38:39], v[102:103], s[6:7], v[38:39]
	v_add_f64 v[61:62], v[61:62], v[173:174]
	v_fma_f64 v[44:45], v[64:65], s[4:5], v[66:67]
	v_add_f64 v[96:97], v[108:109], -v[132:133]
	v_fma_f64 v[64:65], v[64:65], s[4:5], v[68:69]
	v_add_f64 v[104:105], v[110:111], -v[130:131]
	v_add3_u32 v92, 0, v59, v60
	v_fma_f64 v[68:69], v[70:71], -0.5, v[74:75]
	v_add_f64 v[70:71], v[158:159], -v[106:107]
	v_fma_f64 v[38:39], v[46:47], s[4:5], v[38:39]
	v_add_f64 v[40:41], v[61:62], v[94:95]
	v_add_f64 v[61:62], v[110:111], v[130:131]
	v_add_f64 v[94:95], v[177:178], -v[112:113]
	v_fma_f64 v[46:47], v[84:85], s[4:5], v[86:87]
	ds_write_b128 v92, v[40:43]
	ds_write_b128 v92, v[44:47] offset:240
	ds_write_b128 v92, v[32:35] offset:480
	v_fma_f64 v[114:115], v[70:71], s[14:15], v[68:69]
	v_fma_f64 v[59:60], v[61:62], -0.5, v[72:73]
	v_add_f64 v[61:62], v[177:178], -v[108:109]
	v_add_f64 v[42:43], v[94:95], v[96:97]
	v_add_f64 v[34:35], v[158:159], v[106:107]
	ds_write_b128 v92, v[36:39] offset:720
	v_add_f64 v[36:37], v[177:178], v[108:109]
	v_fma_f64 v[66:67], v[84:85], s[4:5], v[98:99]
	v_fma_f64 v[44:45], v[104:105], s[12:13], v[114:115]
	v_add_f64 v[84:85], v[158:159], -v[110:111]
	v_add_f64 v[86:87], v[106:107], -v[130:131]
	;; [unrolled: 1-line block ×3, first 2 shown]
	v_fma_f64 v[102:103], v[61:62], s[10:11], v[59:60]
	v_fma_f64 v[46:47], v[61:62], s[14:15], v[59:60]
	v_fma_f64 v[59:60], v[34:35], -0.5, v[72:73]
	v_fma_f64 v[36:37], v[36:37], -0.5, v[74:75]
	v_fma_f64 v[34:35], v[42:43], s[4:5], v[44:45]
	v_add_f64 v[44:45], v[74:75], v[112:113]
	v_add_f64 v[40:41], v[84:85], v[86:87]
	;; [unrolled: 1-line block ×3, first 2 shown]
	ds_write_b128 v92, v[64:67] offset:960
	v_add_f64 v[64:65], v[110:111], -v[158:159]
	v_fma_f64 v[66:67], v[70:71], s[10:11], v[68:69]
	v_fma_f64 v[68:69], v[98:99], s[14:15], v[59:60]
	;; [unrolled: 1-line block ×3, first 2 shown]
	v_add_f64 v[44:45], v[44:45], v[177:178]
	v_add_f64 v[72:73], v[130:131], -v[106:107]
	v_add_f64 v[74:75], v[112:113], -v[177:178]
	v_add_f64 v[84:85], v[132:133], -v[108:109]
	v_fma_f64 v[86:87], v[104:105], s[10:11], v[36:37]
	v_add_f64 v[38:39], v[38:39], v[158:159]
	v_fma_f64 v[46:47], v[98:99], s[12:13], v[46:47]
	v_fma_f64 v[66:67], v[104:105], s[6:7], v[66:67]
	v_add_f64 v[44:45], v[44:45], v[108:109]
	v_add_f64 v[64:65], v[64:65], v[72:73]
	v_fma_f64 v[68:69], v[61:62], s[6:7], v[68:69]
	v_add_f64 v[72:73], v[74:75], v[84:85]
	v_fma_f64 v[74:75], v[70:71], s[12:13], v[86:87]
	v_fma_f64 v[59:60], v[61:62], s[12:13], v[59:60]
	;; [unrolled: 1-line block ×4, first 2 shown]
	v_add_f64 v[96:97], v[38:39], v[106:107]
	v_fma_f64 v[36:37], v[40:41], s[4:5], v[46:47]
	v_fma_f64 v[38:39], v[42:43], s[4:5], v[66:67]
	v_add_f64 v[42:43], v[44:45], v[132:133]
	v_fma_f64 v[44:45], v[64:65], s[4:5], v[68:69]
	v_fma_f64 v[46:47], v[72:73], s[4:5], v[74:75]
	;; [unrolled: 1-line block ×3, first 2 shown]
	v_add_f64 v[64:65], v[181:182], v[88:89]
	v_add3_u32 v86, 0, v57, v58
	v_fma_f64 v[32:33], v[40:41], s[4:5], v[32:33]
	v_fma_f64 v[61:62], v[70:71], s[6:7], v[94:95]
	v_add_f64 v[40:41], v[96:97], v[130:131]
	v_add_f64 v[66:67], v[179:180], v[187:188]
	ds_write_b128 v86, v[44:47] offset:240
	v_add_f64 v[46:47], v[90:91], -v[185:186]
	v_fma_f64 v[44:45], v[64:65], -0.5, v[78:79]
	v_add_f64 v[57:58], v[90:91], -v[179:180]
	v_add_f64 v[64:65], v[185:186], -v[187:188]
	v_fma_f64 v[61:62], v[72:73], s[4:5], v[61:62]
	ds_write_b128 v86, v[40:43]
	v_fma_f64 v[40:41], v[66:67], -0.5, v[76:77]
	v_add_f64 v[66:67], v[183:184], -v[181:182]
	v_add_f64 v[72:73], v[100:101], -v[88:89]
	;; [unrolled: 1-line block ×3, first 2 shown]
	v_fma_f64 v[84:85], v[46:47], s[14:15], v[44:45]
	v_add_f64 v[42:43], v[183:184], -v[100:101]
	ds_write_b128 v86, v[32:35] offset:480
	ds_write_b128 v86, v[36:39] offset:720
	;; [unrolled: 1-line block ×3, first 2 shown]
	v_add_f64 v[34:35], v[90:91], v[185:186]
	v_add_f64 v[36:37], v[57:58], v[64:65]
	;; [unrolled: 1-line block ×4, first 2 shown]
	v_add_f64 v[68:69], v[181:182], -v[88:89]
	v_fma_f64 v[57:58], v[74:75], s[12:13], v[84:85]
	v_fma_f64 v[70:71], v[42:43], s[10:11], v[40:41]
	v_add_f64 v[61:62], v[76:77], v[179:180]
	v_fma_f64 v[64:65], v[34:35], -0.5, v[76:77]
	v_add_f64 v[66:67], v[78:79], v[181:182]
	v_fma_f64 v[40:41], v[42:43], s[14:15], v[40:41]
	v_fma_f64 v[44:45], v[46:47], s[10:11], v[44:45]
	v_add_f64 v[72:73], v[187:188], -v[185:186]
	v_fma_f64 v[34:35], v[38:39], s[4:5], v[57:58]
	v_fma_f64 v[57:58], v[59:60], -0.5, v[78:79]
	v_fma_f64 v[32:33], v[68:69], s[6:7], v[70:71]
	v_add_f64 v[59:60], v[61:62], v[90:91]
	v_add_f64 v[61:62], v[179:180], -v[90:91]
	v_fma_f64 v[70:71], v[68:69], s[14:15], v[64:65]
	v_add_f64 v[66:67], v[66:67], v[183:184]
	v_fma_f64 v[64:65], v[68:69], s[10:11], v[64:65]
	v_add_f64 v[76:77], v[181:182], -v[183:184]
	v_add_f64 v[78:79], v[88:89], -v[100:101]
	v_fma_f64 v[84:85], v[74:75], s[10:11], v[57:58]
	v_fma_f64 v[40:41], v[68:69], s[12:13], v[40:41]
	;; [unrolled: 1-line block ×3, first 2 shown]
	v_add_f64 v[59:60], v[59:60], v[185:186]
	v_fma_f64 v[57:58], v[74:75], s[14:15], v[57:58]
	v_add_f64 v[66:67], v[66:67], v[100:101]
	v_add_f64 v[61:62], v[61:62], v[72:73]
	v_fma_f64 v[68:69], v[42:43], s[6:7], v[70:71]
	v_fma_f64 v[64:65], v[42:43], s[12:13], v[64:65]
	v_add_f64 v[70:71], v[76:77], v[78:79]
	v_fma_f64 v[72:73], v[46:47], s[12:13], v[84:85]
	v_fma_f64 v[32:33], v[36:37], s[4:5], v[32:33]
	;; [unrolled: 1-line block ×5, first 2 shown]
	v_add_f64 v[40:41], v[59:60], v[187:188]
	v_add_f64 v[42:43], v[66:67], v[88:89]
	v_fma_f64 v[44:45], v[61:62], s[4:5], v[68:69]
	v_fma_f64 v[57:58], v[61:62], s[4:5], v[64:65]
	v_add_f64 v[61:62], v[26:27], v[16:17]
	v_add_f64 v[64:65], v[20:21], v[18:19]
	v_fma_f64 v[46:47], v[70:71], s[4:5], v[72:73]
	ds_write_b128 v56, v[40:43]
	ds_write_b128 v56, v[44:47] offset:240
	v_fma_f64 v[40:41], v[61:62], -0.5, v[80:81]
	v_add_f64 v[42:43], v[28:29], -v[24:25]
	ds_write_b128 v56, v[32:35] offset:480
	v_fma_f64 v[32:33], v[64:65], -0.5, v[82:83]
	v_add_f64 v[44:45], v[30:31], -v[22:23]
	v_fma_f64 v[59:60], v[70:71], s[4:5], v[74:75]
	v_add_f64 v[34:35], v[30:31], -v[26:27]
	v_add_f64 v[46:47], v[22:23], -v[16:17]
	;; [unrolled: 1-line block ×4, first 2 shown]
	v_fma_f64 v[65:66], v[42:43], s[10:11], v[40:41]
	v_add_f64 v[67:68], v[24:25], -v[18:19]
	v_add_f64 v[69:70], v[26:27], -v[16:17]
	v_fma_f64 v[71:72], v[44:45], s[14:15], v[32:33]
	ds_write_b128 v56, v[36:39] offset:720
	v_fma_f64 v[36:37], v[42:43], s[14:15], v[40:41]
	v_add_f64 v[40:41], v[30:31], v[22:23]
	ds_write_b128 v56, v[57:60] offset:960
	v_add_f64 v[38:39], v[34:35], v[46:47]
	v_fma_f64 v[34:35], v[63:64], s[6:7], v[65:66]
	v_add_f64 v[46:47], v[61:62], v[67:68]
	v_fma_f64 v[56:57], v[69:70], s[12:13], v[71:72]
	v_fma_f64 v[58:59], v[44:45], s[10:11], v[32:33]
	;; [unrolled: 1-line block ×3, first 2 shown]
	v_add_f64 v[60:61], v[28:29], v[24:25]
	v_add_f64 v[65:66], v[80:81], v[26:27]
	v_fma_f64 v[40:41], v[40:41], -0.5, v[80:81]
	v_add_f64 v[67:68], v[82:83], v[20:21]
	v_fma_f64 v[32:33], v[38:39], s[4:5], v[34:35]
	v_fma_f64 v[34:35], v[46:47], s[4:5], v[56:57]
	;; [unrolled: 1-line block ×4, first 2 shown]
	v_fma_f64 v[38:39], v[60:61], -0.5, v[82:83]
	v_add_f64 v[58:59], v[65:66], v[30:31]
	v_add_f64 v[26:27], v[26:27], -v[30:31]
	v_fma_f64 v[30:31], v[63:64], s[14:15], v[40:41]
	v_add_f64 v[60:61], v[67:68], v[28:29]
	v_add_f64 v[65:66], v[16:17], -v[22:23]
	v_fma_f64 v[40:41], v[63:64], s[10:11], v[40:41]
	v_add_f64 v[20:21], v[20:21], -v[28:29]
	v_add_f64 v[28:29], v[18:19], -v[24:25]
	v_fma_f64 v[67:68], v[69:70], s[10:11], v[38:39]
	v_add_f64 v[22:23], v[58:59], v[22:23]
	v_fma_f64 v[58:59], v[69:70], s[14:15], v[38:39]
	v_add_f64 v[24:25], v[60:61], v[24:25]
	v_add_f64 v[26:27], v[26:27], v[65:66]
	v_fma_f64 v[40:41], v[42:43], s[12:13], v[40:41]
	v_fma_f64 v[30:31], v[42:43], s[6:7], v[30:31]
	v_add_f64 v[28:29], v[20:21], v[28:29]
	v_fma_f64 v[60:61], v[44:45], s[12:13], v[67:68]
	v_add_f64 v[16:17], v[22:23], v[16:17]
	;; [unrolled: 2-line block ×3, first 2 shown]
	v_fma_f64 v[38:39], v[46:47], s[4:5], v[56:57]
	v_fma_f64 v[24:25], v[26:27], s[4:5], v[40:41]
	v_add_f64 v[40:41], v[0:1], v[10:11]
	v_fma_f64 v[20:21], v[26:27], s[4:5], v[30:31]
	v_fma_f64 v[22:23], v[28:29], s[4:5], v[60:61]
	v_add_f64 v[30:31], v[4:5], v[8:9]
	v_fma_f64 v[26:27], v[28:29], s[4:5], v[42:43]
	v_mul_u32_u24_e32 v28, 0x4b0, v54
	v_lshlrev_b32_e32 v29, 4, v55
	v_add3_u32 v62, 0, v28, v29
	ds_write_b128 v62, v[16:19]
	v_fma_f64 v[40:41], v[40:41], -0.5, v[50:51]
	v_add_f64 v[42:43], v[12:13], -v[2:3]
	v_add_f64 v[16:17], v[12:13], -v[4:5]
	;; [unrolled: 1-line block ×3, first 2 shown]
	v_fma_f64 v[28:29], v[30:31], -0.5, v[48:49]
	v_add_f64 v[30:31], v[6:7], -v[14:15]
	v_add_f64 v[44:45], v[6:7], -v[0:1]
	;; [unrolled: 1-line block ×4, first 2 shown]
	v_fma_f64 v[60:61], v[42:43], s[14:15], v[40:41]
	ds_write_b128 v62, v[20:23] offset:240
	ds_write_b128 v62, v[32:35] offset:480
	;; [unrolled: 1-line block ×3, first 2 shown]
	v_add_f64 v[20:21], v[16:17], v[18:19]
	v_add_f64 v[18:19], v[12:13], v[2:3]
	ds_write_b128 v62, v[24:27] offset:960
	v_add_f64 v[26:27], v[6:7], v[14:15]
	v_fma_f64 v[54:55], v[30:31], s[10:11], v[28:29]
	v_fma_f64 v[24:25], v[30:31], s[14:15], v[28:29]
	v_add_f64 v[28:29], v[48:49], v[4:5]
	v_add_f64 v[36:37], v[50:51], v[0:1]
	v_add_f64 v[46:47], v[0:1], -v[10:11]
	v_add_f64 v[22:23], v[44:45], v[56:57]
	v_fma_f64 v[32:33], v[58:59], s[12:13], v[60:61]
	v_fma_f64 v[34:35], v[18:19], -0.5, v[48:49]
	v_fma_f64 v[26:27], v[26:27], -0.5, v[50:51]
	v_add_f64 v[4:5], v[4:5], -v[12:13]
	v_add_f64 v[28:29], v[28:29], v[12:13]
	v_add_f64 v[36:37], v[36:37], v[6:7]
	v_add_f64 v[38:39], v[8:9], -v[2:3]
	v_add_f64 v[0:1], v[0:1], -v[6:7]
	v_fma_f64 v[18:19], v[22:23], s[4:5], v[32:33]
	v_fma_f64 v[32:33], v[42:43], s[10:11], v[40:41]
	;; [unrolled: 1-line block ×3, first 2 shown]
	v_add_f64 v[6:7], v[10:11], -v[14:15]
	v_fma_f64 v[40:41], v[58:59], s[10:11], v[26:27]
	v_fma_f64 v[34:35], v[46:47], s[10:11], v[34:35]
	;; [unrolled: 1-line block ×3, first 2 shown]
	v_add_f64 v[2:3], v[28:29], v[2:3]
	v_add_f64 v[14:15], v[36:37], v[14:15]
	;; [unrolled: 1-line block ×3, first 2 shown]
	v_fma_f64 v[12:13], v[30:31], s[6:7], v[12:13]
	v_add_f64 v[36:37], v[0:1], v[6:7]
	v_fma_f64 v[38:39], v[42:43], s[12:13], v[40:41]
	v_fma_f64 v[16:17], v[46:47], s[6:7], v[54:55]
	;; [unrolled: 1-line block ×6, first 2 shown]
	v_add_f64 v[4:5], v[2:3], v[8:9]
	v_add_f64 v[6:7], v[14:15], v[10:11]
	v_fma_f64 v[8:9], v[28:29], s[4:5], v[12:13]
	v_fma_f64 v[10:11], v[36:37], s[4:5], v[38:39]
	;; [unrolled: 1-line block ×7, first 2 shown]
	v_mul_u32_u24_e32 v20, 0x4b0, v52
	v_lshlrev_b32_e32 v21, 4, v53
	v_add3_u32 v20, 0, v20, v21
	ds_write_b128 v20, v[4:7]
	ds_write_b128 v20, v[8:11] offset:240
	ds_write_b128 v20, v[16:19] offset:480
	;; [unrolled: 1-line block ×4, first 2 shown]
	v_add_u32_e32 v0, 0xffffffb5, v160
	v_cndmask_b32_e32 v99, v0, v160, vcc
	v_mul_i32_i24_e32 v35, 9, v99
	v_mov_b32_e32 v36, 0
	v_lshlrev_b64 v[0:1], 4, v[35:36]
	v_mov_b32_e32 v94, s9
	v_add_co_u32_e32 v8, vcc, s8, v0
	v_addc_co_u32_e32 v9, vcc, v94, v1, vcc
	s_waitcnt lgkmcnt(0)
	s_barrier
	global_load_dwordx4 v[0:3], v[8:9], off offset:1152
	global_load_dwordx4 v[4:7], v[8:9], off offset:1168
	;; [unrolled: 1-line block ×8, first 2 shown]
	s_movk_i32 s16, 0xdb
	v_mul_lo_u16_sdwa v10, v167, s16 dst_sel:DWORD dst_unused:UNUSED_PAD src0_sel:BYTE_0 src1_sel:DWORD
	v_lshrrev_b16_e32 v95, 14, v10
	v_mul_lo_u16_e32 v10, 0x4b, v95
	global_load_dwordx4 v[41:44], v[8:9], off offset:1280
	v_sub_u16_e32 v96, v167, v10
	v_mov_b32_e32 v8, 9
	v_mul_u32_u24_sdwa v8, v96, v8 dst_sel:DWORD dst_unused:UNUSED_PAD src0_sel:BYTE_0 src1_sel:DWORD
	v_lshlrev_b32_e32 v77, 4, v8
	global_load_dwordx4 v[45:48], v77, s[8:9] offset:1152
	global_load_dwordx4 v[49:52], v77, s[8:9] offset:1168
	ds_read_b128 v[8:11], v164 offset:6000
	ds_read_b128 v[53:56], v164 offset:12000
	;; [unrolled: 1-line block ×4, first 2 shown]
	global_load_dwordx4 v[61:64], v77, s[8:9] offset:1184
	global_load_dwordx4 v[65:68], v77, s[8:9] offset:1200
	;; [unrolled: 1-line block ×4, first 2 shown]
	s_mov_b32 s16, 0xb4e9
	v_lshlrev_b32_e32 v99, 4, v99
	s_waitcnt vmcnt(14) lgkmcnt(3)
	v_mul_f64 v[12:13], v[10:11], v[2:3]
	v_mul_f64 v[2:3], v[8:9], v[2:3]
	s_waitcnt vmcnt(13) lgkmcnt(2)
	v_mul_f64 v[73:74], v[55:56], v[6:7]
	v_mul_f64 v[6:7], v[53:54], v[6:7]
	v_fma_f64 v[12:13], v[8:9], v[0:1], -v[12:13]
	v_fma_f64 v[14:15], v[10:11], v[0:1], v[2:3]
	v_fma_f64 v[8:9], v[53:54], v[4:5], -v[73:74]
	ds_read_b128 v[0:3], v164 offset:18000
	ds_read_b128 v[73:76], v164 offset:24000
	v_fma_f64 v[10:11], v[55:56], v[4:5], v[6:7]
	ds_read_b128 v[53:56], v164 offset:22000
	ds_read_b128 v[4:7], v164 offset:20000
	global_load_dwordx4 v[89:92], v77, s[8:9] offset:1248
	global_load_dwordx4 v[104:107], v77, s[8:9] offset:1264
	;; [unrolled: 1-line block ×3, first 2 shown]
	v_mul_u32_u24_sdwa v77, v168, s16 dst_sel:DWORD dst_unused:UNUSED_PAD src0_sel:WORD_0 src1_sel:DWORD
	v_sub_u16_sdwa v78, v168, v77 dst_sel:DWORD dst_unused:UNUSED_PAD src0_sel:DWORD src1_sel:WORD_1
	v_lshrrev_b16_e32 v78, 1, v78
	v_add_u16_sdwa v77, v78, v77 dst_sel:DWORD dst_unused:UNUSED_PAD src0_sel:DWORD src1_sel:WORD_1
	v_lshrrev_b16_e32 v97, 6, v77
	v_mul_lo_u16_e32 v77, 0x4b, v97
	v_sub_u16_e32 v98, v168, v77
	v_mul_u32_u24_e32 v81, 9, v98
	v_lshlrev_b32_e32 v152, 4, v81
	s_waitcnt vmcnt(15) lgkmcnt(3)
	v_mul_f64 v[120:121], v[2:3], v[18:19]
	v_mul_f64 v[18:19], v[0:1], v[18:19]
	global_load_dwordx4 v[112:115], v152, s[8:9] offset:1152
	ds_read_b128 v[77:80], v164 offset:30000
	ds_read_b128 v[116:119], v164 offset:32000
	;; [unrolled: 1-line block ×3, first 2 shown]
	s_waitcnt vmcnt(15) lgkmcnt(5)
	v_mul_f64 v[128:129], v[75:76], v[22:23]
	global_load_dwordx4 v[124:127], v152, s[8:9] offset:1168
	v_mul_f64 v[22:23], v[73:74], v[22:23]
	s_waitcnt vmcnt(15) lgkmcnt(2)
	v_mul_f64 v[130:131], v[79:80], v[26:27]
	v_fma_f64 v[156:157], v[0:1], v[16:17], -v[120:121]
	s_waitcnt vmcnt(14) lgkmcnt(0)
	v_mul_f64 v[132:133], v[83:84], v[30:31]
	v_mul_f64 v[30:31], v[81:82], v[30:31]
	v_fma_f64 v[158:159], v[2:3], v[16:17], v[18:19]
	global_load_dwordx4 v[0:3], v152, s[8:9] offset:1184
	v_mul_f64 v[26:27], v[77:78], v[26:27]
	global_load_dwordx4 v[16:19], v152, s[8:9] offset:1200
	v_fma_f64 v[169:170], v[73:74], v[20:21], -v[128:129]
	v_fma_f64 v[173:174], v[77:78], v[24:25], -v[130:131]
	global_load_dwordx4 v[128:131], v152, s[8:9] offset:1216
	v_fma_f64 v[177:178], v[81:82], v[28:29], -v[132:133]
	v_fma_f64 v[179:180], v[83:84], v[28:29], v[30:31]
	global_load_dwordx4 v[28:31], v152, s[8:9] offset:1232
	ds_read_b128 v[120:123], v164 offset:34000
	v_fma_f64 v[171:172], v[75:76], v[20:21], v[22:23]
	ds_read_b128 v[20:23], v164 offset:42000
	v_fma_f64 v[175:176], v[79:80], v[24:25], v[26:27]
	ds_read_b128 v[24:27], v164 offset:44000
	ds_read_b128 v[73:76], v164 offset:48000
	;; [unrolled: 1-line block ×3, first 2 shown]
	global_load_dwordx4 v[136:139], v152, s[8:9] offset:1248
	global_load_dwordx4 v[140:143], v152, s[8:9] offset:1264
	s_waitcnt vmcnt(19) lgkmcnt(3)
	v_mul_f64 v[81:82], v[22:23], v[34:35]
	global_load_dwordx4 v[152:155], v152, s[8:9] offset:1280
	v_mul_f64 v[34:35], v[20:21], v[34:35]
	s_waitcnt vmcnt(19) lgkmcnt(1)
	v_mul_f64 v[83:84], v[75:76], v[39:40]
	v_mul_f64 v[39:40], v[73:74], v[39:40]
	ds_read_b128 v[148:151], v164 offset:16000
	s_waitcnt vmcnt(18) lgkmcnt(1)
	v_mul_f64 v[181:182], v[79:80], v[43:44]
	v_mul_f64 v[43:44], v[77:78], v[43:44]
	v_fma_f64 v[183:184], v[20:21], v[32:33], -v[81:82]
	ds_read_b128 v[132:135], v164 offset:46000
	v_fma_f64 v[185:186], v[22:23], v[32:33], v[34:35]
	ds_read_b128 v[20:23], v164 offset:14000
	v_fma_f64 v[187:188], v[73:74], v[37:38], -v[83:84]
	s_waitcnt vmcnt(17)
	v_mul_f64 v[32:33], v[59:60], v[47:48]
	v_mul_f64 v[34:35], v[57:58], v[47:48]
	v_fma_f64 v[189:190], v[75:76], v[37:38], v[39:40]
	s_waitcnt vmcnt(16) lgkmcnt(0)
	v_mul_f64 v[47:48], v[22:23], v[51:52]
	v_mul_f64 v[37:38], v[20:21], v[51:52]
	v_fma_f64 v[181:182], v[77:78], v[41:42], -v[181:182]
	v_fma_f64 v[191:192], v[79:80], v[41:42], v[43:44]
	s_waitcnt vmcnt(15)
	v_mul_f64 v[39:40], v[6:7], v[63:64]
	v_fma_f64 v[73:74], v[57:58], v[45:46], -v[32:33]
	v_fma_f64 v[75:76], v[59:60], v[45:46], v[34:35]
	ds_read_b128 v[32:35], v164 offset:26000
	ds_read_b128 v[41:44], v164 offset:28000
	v_fma_f64 v[57:58], v[20:21], v[49:50], -v[47:48]
	v_fma_f64 v[59:60], v[22:23], v[49:50], v[37:38]
	ds_read_b128 v[20:23], v164 offset:38000
	ds_read_b128 v[45:48], v164 offset:40000
	v_mul_f64 v[51:52], v[4:5], v[63:64]
	s_waitcnt vmcnt(14) lgkmcnt(3)
	v_mul_f64 v[37:38], v[34:35], v[67:68]
	v_mul_f64 v[49:50], v[32:33], v[67:68]
	s_waitcnt vmcnt(12) lgkmcnt(1)
	v_mul_f64 v[193:194], v[22:23], v[87:88]
	v_mul_f64 v[67:68], v[118:119], v[71:72]
	v_fma_f64 v[79:80], v[4:5], v[61:62], -v[39:40]
	v_mul_f64 v[71:72], v[116:117], v[71:72]
	ds_read_b128 v[144:147], v164 offset:56000
	v_fma_f64 v[77:78], v[6:7], v[61:62], v[51:52]
	v_fma_f64 v[61:62], v[32:33], v[65:66], -v[37:38]
	v_mul_f64 v[32:33], v[20:21], v[87:88]
	v_fma_f64 v[63:64], v[34:35], v[65:66], v[49:50]
	v_fma_f64 v[65:66], v[20:21], v[85:86], -v[193:194]
	s_waitcnt vmcnt(11)
	v_mul_f64 v[20:21], v[26:27], v[91:92]
	ds_read_b128 v[4:7], v164 offset:50000
	v_fma_f64 v[83:84], v[116:117], v[69:70], -v[67:68]
	v_mul_f64 v[34:35], v[24:25], v[91:92]
	v_fma_f64 v[81:82], v[118:119], v[69:70], v[71:72]
	ds_read_b128 v[116:119], v164 offset:52000
	v_fma_f64 v[67:68], v[22:23], v[85:86], v[32:33]
	s_waitcnt vmcnt(10) lgkmcnt(1)
	v_mul_f64 v[22:23], v[6:7], v[106:107]
	v_mul_f64 v[32:33], v[4:5], v[106:107]
	v_fma_f64 v[87:88], v[24:25], v[89:90], -v[20:21]
	s_waitcnt vmcnt(8)
	v_mul_f64 v[24:25], v[100:101], v[114:115]
	v_mul_f64 v[37:38], v[146:147], v[110:111]
	;; [unrolled: 1-line block ×3, first 2 shown]
	v_fma_f64 v[85:86], v[26:27], v[89:90], v[34:35]
	v_mul_f64 v[20:21], v[102:103], v[114:115]
	v_fma_f64 v[71:72], v[4:5], v[104:105], -v[22:23]
	v_fma_f64 v[69:70], v[6:7], v[104:105], v[32:33]
	s_waitcnt vmcnt(7)
	v_mul_f64 v[4:5], v[150:151], v[126:127]
	v_mul_f64 v[6:7], v[148:149], v[126:127]
	v_fma_f64 v[34:35], v[102:103], v[112:113], v[24:25]
	v_fma_f64 v[91:92], v[144:145], v[108:109], -v[37:38]
	s_waitcnt vmcnt(6)
	v_mul_f64 v[24:25], v[55:56], v[2:3]
	v_mul_f64 v[2:3], v[53:54], v[2:3]
	s_waitcnt vmcnt(5)
	v_mul_f64 v[26:27], v[43:44], v[18:19]
	v_mul_f64 v[18:19], v[41:42], v[18:19]
	v_fma_f64 v[89:90], v[146:147], v[108:109], v[39:40]
	v_fma_f64 v[32:33], v[100:101], v[112:113], -v[20:21]
	v_fma_f64 v[22:23], v[148:149], v[124:125], -v[4:5]
	v_fma_f64 v[20:21], v[150:151], v[124:125], v[6:7]
	s_waitcnt vmcnt(4)
	v_mul_f64 v[4:5], v[122:123], v[130:131]
	v_mul_f64 v[6:7], v[120:121], v[130:131]
	v_fma_f64 v[39:40], v[53:54], v[0:1], -v[24:25]
	v_fma_f64 v[37:38], v[55:56], v[0:1], v[2:3]
	s_waitcnt vmcnt(3)
	v_mul_f64 v[0:1], v[47:48], v[30:31]
	v_mul_f64 v[2:3], v[45:46], v[30:31]
	;; [unrolled: 5-line block ×3, first 2 shown]
	s_waitcnt vmcnt(1) lgkmcnt(0)
	v_mul_f64 v[53:54], v[118:119], v[142:143]
	v_mul_f64 v[55:56], v[116:117], v[142:143]
	v_fma_f64 v[43:44], v[120:121], v[128:129], -v[4:5]
	v_fma_f64 v[41:42], v[122:123], v[128:129], v[6:7]
	v_fma_f64 v[30:31], v[45:46], v[28:29], -v[0:1]
	v_fma_f64 v[28:29], v[47:48], v[28:29], v[2:3]
	ds_read_b128 v[0:3], v164 offset:58000
	ds_read_b128 v[4:7], v164
	v_fma_f64 v[51:52], v[132:133], v[136:137], -v[16:17]
	v_fma_f64 v[49:50], v[134:135], v[136:137], v[18:19]
	v_fma_f64 v[47:48], v[116:117], v[140:141], -v[53:54]
	v_fma_f64 v[45:46], v[118:119], v[140:141], v[55:56]
	s_waitcnt lgkmcnt(0)
	v_add_f64 v[16:17], v[4:5], v[8:9]
	v_add_f64 v[18:19], v[6:7], v[10:11]
	;; [unrolled: 1-line block ×3, first 2 shown]
	s_waitcnt vmcnt(0)
	v_mul_f64 v[55:56], v[2:3], v[154:155]
	v_add_f64 v[106:107], v[14:15], v[158:159]
	v_mul_f64 v[100:101], v[0:1], v[154:155]
	v_add_f64 v[102:103], v[169:170], v[177:178]
	v_add_f64 v[104:105], v[8:9], v[187:188]
	;; [unrolled: 1-line block ×5, first 2 shown]
	v_fma_f64 v[55:56], v[0:1], v[152:153], -v[55:56]
	v_add_f64 v[0:1], v[106:107], v[175:176]
	v_fma_f64 v[53:54], v[2:3], v[152:153], v[100:101]
	v_fma_f64 v[110:111], v[102:103], -0.5, v[4:5]
	v_fma_f64 v[104:105], v[104:105], -0.5, v[4:5]
	v_add_f64 v[2:3], v[16:17], v[177:178]
	v_add_f64 v[4:5], v[18:19], v[179:180]
	;; [unrolled: 1-line block ×11, first 2 shown]
	v_fma_f64 v[18:19], v[18:19], -0.5, v[14:15]
	v_add_f64 v[112:113], v[156:157], -v[181:182]
	v_fma_f64 v[102:103], v[102:103], -0.5, v[12:13]
	v_add_f64 v[114:115], v[158:159], -v[191:192]
	v_add_f64 v[116:117], v[0:1], v[191:192]
	v_add_f64 v[0:1], v[156:157], -v[173:174]
	v_add_f64 v[118:119], v[181:182], -v[183:184]
	;; [unrolled: 1-line block ×4, first 2 shown]
	v_fma_f64 v[124:125], v[112:113], s[10:11], v[18:19]
	v_add_f64 v[126:127], v[173:174], -v[183:184]
	v_fma_f64 v[128:129], v[114:115], s[14:15], v[102:103]
	v_add_f64 v[130:131], v[175:176], -v[185:186]
	v_fma_f64 v[132:133], v[100:101], -0.5, v[6:7]
	v_fma_f64 v[106:107], v[106:107], -0.5, v[6:7]
	v_add_f64 v[4:5], v[2:3], v[16:17]
	v_add_f64 v[6:7], v[108:109], v[116:117]
	v_add_f64 v[118:119], v[0:1], v[118:119]
	v_add_f64 v[0:1], v[2:3], -v[16:17]
	v_add_f64 v[2:3], v[108:109], -v[116:117]
	v_add_f64 v[108:109], v[158:159], v[191:192]
	v_add_f64 v[116:117], v[156:157], v[181:182]
	v_add_f64 v[120:121], v[120:121], v[122:123]
	v_fma_f64 v[100:101], v[126:127], s[12:13], v[124:125]
	v_fma_f64 v[122:123], v[130:131], s[6:7], v[128:129]
	v_add_f64 v[124:125], v[8:9], -v[169:170]
	v_add_f64 v[128:129], v[187:188], -v[177:178]
	;; [unrolled: 1-line block ×4, first 2 shown]
	v_fma_f64 v[14:15], v[108:109], -0.5, v[14:15]
	v_fma_f64 v[12:13], v[116:117], -0.5, v[12:13]
	v_fma_f64 v[16:17], v[120:121], s[4:5], v[100:101]
	v_fma_f64 v[100:101], v[118:119], s[4:5], v[122:123]
	v_add_f64 v[138:139], v[183:184], -v[181:182]
	v_add_f64 v[122:123], v[124:125], v[128:129]
	v_add_f64 v[140:141], v[175:176], -v[158:159]
	v_add_f64 v[124:125], v[134:135], v[136:137]
	v_add_f64 v[136:137], v[173:174], -v[156:157]
	v_add_f64 v[142:143], v[185:186], -v[191:192]
	v_fma_f64 v[144:145], v[126:127], s[14:15], v[14:15]
	v_fma_f64 v[146:147], v[130:131], s[10:11], v[12:13]
	v_add_f64 v[108:109], v[10:11], -v[189:190]
	v_add_f64 v[116:117], v[8:9], -v[187:188]
	v_fma_f64 v[12:13], v[130:131], s[14:15], v[12:13]
	v_fma_f64 v[14:15], v[126:127], s[10:11], v[14:15]
	v_add_f64 v[136:137], v[136:137], v[138:139]
	v_add_f64 v[138:139], v[140:141], v[142:143]
	v_fma_f64 v[140:141], v[112:113], s[12:13], v[144:145]
	v_fma_f64 v[142:143], v[114:115], s[6:7], v[146:147]
	v_mul_f64 v[128:129], v[16:17], s[6:7]
	v_mul_f64 v[134:135], v[100:101], s[12:13]
	v_fma_f64 v[148:149], v[108:109], s[14:15], v[110:111]
	v_add_f64 v[150:151], v[171:172], -v[179:180]
	v_fma_f64 v[152:153], v[116:117], s[10:11], v[132:133]
	v_add_f64 v[154:155], v[169:170], -v[177:178]
	v_fma_f64 v[140:141], v[138:139], s[4:5], v[140:141]
	v_fma_f64 v[142:143], v[136:137], s[4:5], v[142:143]
	;; [unrolled: 1-line block ×4, first 2 shown]
	s_mov_b32 s16, 0x9b97f4a8
	s_mov_b32 s17, 0x3fe9e377
	v_fma_f64 v[100:101], v[100:101], s[16:17], v[128:129]
	v_fma_f64 v[128:129], v[16:17], s[16:17], v[134:135]
	v_mul_f64 v[156:157], v[140:141], s[14:15]
	v_mul_f64 v[158:159], v[142:143], s[10:11]
	v_fma_f64 v[16:17], v[150:151], s[6:7], v[148:149]
	v_fma_f64 v[134:135], v[154:155], s[12:13], v[152:153]
	v_add_f64 v[8:9], v[169:170], -v[8:9]
	v_add_f64 v[144:145], v[177:178], -v[187:188]
	;; [unrolled: 1-line block ×4, first 2 shown]
	v_fma_f64 v[142:143], v[142:143], s[4:5], v[156:157]
	v_fma_f64 v[140:141], v[140:141], s[4:5], v[158:159]
	v_fma_f64 v[156:157], v[114:115], s[10:11], v[102:103]
	v_fma_f64 v[158:159], v[112:113], s[14:15], v[18:19]
	v_fma_f64 v[148:149], v[150:151], s[10:11], v[104:105]
	v_fma_f64 v[152:153], v[154:155], s[14:15], v[106:107]
	v_fma_f64 v[104:105], v[150:151], s[14:15], v[104:105]
	v_fma_f64 v[106:107], v[154:155], s[10:11], v[106:107]
	v_fma_f64 v[12:13], v[136:137], s[4:5], v[12:13]
	v_fma_f64 v[14:15], v[138:139], s[4:5], v[14:15]
	v_fma_f64 v[112:113], v[130:131], s[12:13], v[156:157]
	v_fma_f64 v[114:115], v[126:127], s[6:7], v[158:159]
	v_fma_f64 v[110:111], v[108:109], s[10:11], v[110:111]
	v_fma_f64 v[126:127], v[116:117], s[14:15], v[132:133]
	v_fma_f64 v[134:135], v[124:125], s[4:5], v[134:135]
	v_add_f64 v[144:145], v[8:9], v[144:145]
	v_add_f64 v[146:147], v[10:11], v[146:147]
	v_fma_f64 v[148:149], v[108:109], s[6:7], v[148:149]
	v_fma_f64 v[112:113], v[118:119], s[4:5], v[112:113]
	;; [unrolled: 1-line block ×6, first 2 shown]
	v_mul_f64 v[108:109], v[12:13], s[4:5]
	v_mul_f64 v[116:117], v[14:15], s[4:5]
	v_fma_f64 v[110:111], v[150:151], s[12:13], v[110:111]
	v_fma_f64 v[118:119], v[154:155], s[6:7], v[126:127]
	v_mul_f64 v[120:121], v[112:113], s[16:17]
	v_mul_f64 v[126:127], v[114:115], s[16:17]
	v_fma_f64 v[16:17], v[122:123], s[4:5], v[16:17]
	v_add_f64 v[10:11], v[134:135], v[128:129]
	v_add_f64 v[18:19], v[134:135], -v[128:129]
	v_fma_f64 v[128:129], v[144:145], s[4:5], v[104:105]
	v_fma_f64 v[130:131], v[146:147], s[4:5], v[106:107]
	v_fma_f64 v[14:15], v[14:15], s[14:15], -v[108:109]
	v_fma_f64 v[12:13], v[12:13], s[10:11], -v[116:117]
	v_fma_f64 v[122:123], v[122:123], s[4:5], v[110:111]
	v_fma_f64 v[124:125], v[124:125], s[4:5], v[118:119]
	v_fma_f64 v[120:121], v[114:115], s[6:7], -v[120:121]
	v_fma_f64 v[126:127], v[112:113], s[12:13], -v[126:127]
	v_fma_f64 v[148:149], v[144:145], s[4:5], v[148:149]
	v_fma_f64 v[152:153], v[146:147], s[4:5], v[152:153]
	v_add_f64 v[8:9], v[16:17], v[100:101]
	v_add_f64 v[108:109], v[128:129], v[14:15]
	;; [unrolled: 1-line block ×3, first 2 shown]
	v_add_f64 v[112:113], v[128:129], -v[14:15]
	v_add_f64 v[114:115], v[130:131], -v[12:13]
	;; [unrolled: 1-line block ×5, first 2 shown]
	v_add_f64 v[100:101], v[148:149], v[142:143]
	v_add_f64 v[102:103], v[152:153], v[140:141]
	v_add_f64 v[104:105], v[148:149], -v[142:143]
	v_add_f64 v[106:107], v[152:153], -v[140:141]
	v_add_f64 v[116:117], v[122:123], v[120:121]
	v_add_f64 v[118:119], v[124:125], v[126:127]
	s_movk_i32 s9, 0x4a
	v_mov_b32_e32 v120, 0x2ee0
	v_cmp_lt_u32_e32 vcc, s9, v160
	v_cndmask_b32_e32 v120, 0, v120, vcc
	v_add3_u32 v132, 0, v120, v99
	ds_read_b128 v[120:123], v164 offset:2000
	ds_read_b128 v[124:127], v164 offset:4000
	s_waitcnt lgkmcnt(0)
	s_barrier
	ds_write_b128 v132, v[4:7]
	v_add_f64 v[130:131], v[75:76], v[77:78]
	ds_write_b128 v132, v[8:11] offset:1200
	ds_write_b128 v132, v[100:103] offset:2400
	;; [unrolled: 1-line block ×9, first 2 shown]
	v_add_f64 v[12:13], v[77:78], -v[81:82]
	v_add_f64 v[14:15], v[89:90], -v[85:86]
	v_add_f64 v[4:5], v[120:121], v[57:58]
	v_add_f64 v[6:7], v[122:123], v[59:60]
	;; [unrolled: 1-line block ×6, first 2 shown]
	v_add_f64 v[113:114], v[83:84], -v[87:88]
	v_add_f64 v[130:131], v[12:13], v[14:15]
	v_add_f64 v[12:13], v[59:60], -v[63:64]
	v_add_f64 v[14:15], v[69:70], -v[67:68]
	v_add_f64 v[4:5], v[4:5], v[61:62]
	v_add_f64 v[6:7], v[6:7], v[63:64]
	v_fma_f64 v[16:17], v[16:17], -0.5, v[75:76]
	v_add_f64 v[8:9], v[128:129], v[83:84]
	v_fma_f64 v[99:100], v[99:100], -0.5, v[73:74]
	v_add_f64 v[117:118], v[81:82], -v[85:86]
	v_add_f64 v[107:108], v[79:80], -v[91:92]
	v_add_f64 v[142:143], v[12:13], v[14:15]
	v_add_f64 v[12:13], v[77:78], v[89:90]
	;; [unrolled: 1-line block ×6, first 2 shown]
	v_add_f64 v[109:110], v[77:78], -v[89:90]
	v_add_f64 v[77:78], v[81:82], -v[77:78]
	v_add_f64 v[81:82], v[85:86], -v[89:90]
	v_fma_f64 v[75:76], v[12:13], -0.5, v[75:76]
	v_fma_f64 v[73:74], v[14:15], -0.5, v[73:74]
	v_add_f64 v[4:5], v[8:9], v[87:88]
	v_add_f64 v[103:104], v[0:1], v[71:72]
	;; [unrolled: 1-line block ×3, first 2 shown]
	v_add_f64 v[0:1], v[79:80], -v[83:84]
	v_add_f64 v[2:3], v[91:92], -v[87:88]
	;; [unrolled: 1-line block ×3, first 2 shown]
	v_fma_f64 v[85:86], v[113:114], s[14:15], v[75:76]
	v_add_f64 v[83:84], v[87:88], -v[91:92]
	v_fma_f64 v[87:88], v[117:118], s[10:11], v[73:74]
	v_add_f64 v[8:9], v[61:62], v[65:66]
	v_add_f64 v[10:11], v[57:58], v[71:72]
	;; [unrolled: 1-line block ×4, first 2 shown]
	v_fma_f64 v[115:116], v[109:110], s[14:15], v[99:100]
	v_add_f64 v[77:78], v[77:78], v[81:82]
	v_fma_f64 v[81:82], v[107:108], s[12:13], v[85:86]
	v_fma_f64 v[111:112], v[107:108], s[10:11], v[16:17]
	v_add_f64 v[79:80], v[79:80], v[83:84]
	v_fma_f64 v[83:84], v[109:110], s[6:7], v[87:88]
	v_fma_f64 v[128:129], v[8:9], -0.5, v[120:121]
	v_fma_f64 v[119:120], v[10:11], -0.5, v[120:121]
	;; [unrolled: 1-line block ×4, first 2 shown]
	v_add_f64 v[121:122], v[0:1], v[2:3]
	v_fma_f64 v[2:3], v[117:118], s[6:7], v[115:116]
	v_add_f64 v[8:9], v[57:58], -v[61:62]
	v_add_f64 v[115:116], v[57:58], -v[71:72]
	;; [unrolled: 1-line block ×6, first 2 shown]
	v_fma_f64 v[65:66], v[77:78], s[4:5], v[81:82]
	v_fma_f64 v[0:1], v[113:114], s[12:13], v[111:112]
	v_add_f64 v[111:112], v[59:60], -v[69:70]
	v_add_f64 v[136:137], v[63:64], -v[67:68]
	;; [unrolled: 1-line block ×4, first 2 shown]
	v_fma_f64 v[67:68], v[79:80], s[4:5], v[83:84]
	v_fma_f64 v[69:70], v[117:118], s[14:15], v[73:74]
	;; [unrolled: 1-line block ×3, first 2 shown]
	v_mul_f64 v[73:74], v[65:66], s[14:15]
	v_fma_f64 v[81:82], v[109:110], s[10:11], v[99:100]
	v_fma_f64 v[16:17], v[107:108], s[14:15], v[16:17]
	;; [unrolled: 1-line block ×4, first 2 shown]
	v_mul_f64 v[75:76], v[67:68], s[10:11]
	v_fma_f64 v[69:70], v[109:110], s[12:13], v[69:70]
	v_fma_f64 v[71:72], v[107:108], s[6:7], v[71:72]
	v_fma_f64 v[67:68], v[67:68], s[4:5], v[73:74]
	v_fma_f64 v[73:74], v[117:118], s[12:13], v[81:82]
	v_fma_f64 v[16:17], v[113:114], s[6:7], v[16:17]
	v_fma_f64 v[0:1], v[111:112], s[14:15], v[128:129]
	v_fma_f64 v[2:3], v[115:116], s[10:11], v[18:19]
	v_add_f64 v[57:58], v[57:58], v[61:62]
	v_add_f64 v[59:60], v[59:60], v[63:64]
	v_fma_f64 v[61:62], v[136:137], s[10:11], v[119:120]
	v_fma_f64 v[63:64], v[138:139], s[14:15], v[101:102]
	;; [unrolled: 1-line block ×11, first 2 shown]
	v_add_f64 v[140:141], v[8:9], v[10:11]
	v_mul_f64 v[8:9], v[132:133], s[6:7]
	v_mul_f64 v[10:11], v[134:135], s[12:13]
	v_fma_f64 v[144:145], v[136:137], s[6:7], v[0:1]
	v_fma_f64 v[146:147], v[138:139], s[12:13], v[2:3]
	;; [unrolled: 1-line block ×6, first 2 shown]
	v_mul_f64 v[85:86], v[69:70], s[4:5]
	v_mul_f64 v[87:88], v[71:72], s[4:5]
	v_add_f64 v[4:5], v[4:5], v[91:92]
	v_add_f64 v[6:7], v[6:7], v[89:90]
	v_fma_f64 v[79:80], v[136:137], s[12:13], v[79:80]
	v_fma_f64 v[81:82], v[138:139], s[6:7], v[81:82]
	v_mul_f64 v[89:90], v[73:74], s[16:17]
	v_mul_f64 v[91:92], v[83:84], s[16:17]
	v_fma_f64 v[134:135], v[134:135], s[16:17], v[8:9]
	v_fma_f64 v[132:133], v[132:133], s[16:17], v[10:11]
	;; [unrolled: 1-line block ×8, first 2 shown]
	v_fma_f64 v[71:72], v[71:72], s[14:15], -v[85:86]
	v_fma_f64 v[69:70], v[69:70], s[10:11], -v[87:88]
	v_fma_f64 v[79:80], v[140:141], s[4:5], v[79:80]
	v_fma_f64 v[81:82], v[142:143], s[4:5], v[81:82]
	v_fma_f64 v[83:84], v[83:84], s[6:7], -v[89:90]
	v_fma_f64 v[85:86], v[73:74], s[12:13], -v[91:92]
	v_add_f64 v[0:1], v[103:104], v[4:5]
	v_add_f64 v[2:3], v[105:106], v[6:7]
	;; [unrolled: 1-line block ×6, first 2 shown]
	v_add_f64 v[57:58], v[61:62], -v[67:68]
	v_add_f64 v[59:60], v[63:64], -v[65:66]
	v_add_f64 v[61:62], v[75:76], v[71:72]
	v_add_f64 v[63:64], v[77:78], v[69:70]
	v_add_f64 v[65:66], v[75:76], -v[71:72]
	v_add_f64 v[67:68], v[77:78], -v[69:70]
	v_add_f64 v[69:70], v[79:80], v[83:84]
	v_add_f64 v[71:72], v[81:82], v[85:86]
	v_add_f64 v[4:5], v[103:104], -v[4:5]
	v_add_f64 v[6:7], v[105:106], -v[6:7]
	v_lshlrev_b32_sdwa v77, v93, v96 dst_sel:DWORD dst_unused:UNUSED_PAD src0_sel:DWORD src1_sel:BYTE_0
	v_mul_u32_u24_e32 v78, 0x2ee0, v95
	v_add3_u32 v77, 0, v78, v77
	v_add_f64 v[12:13], v[12:13], -v[134:135]
	v_add_f64 v[14:15], v[14:15], -v[132:133]
	ds_write_b128 v77, v[0:3]
	ds_write_b128 v77, v[8:11] offset:1200
	ds_write_b128 v77, v[16:19] offset:2400
	;; [unrolled: 1-line block ×5, first 2 shown]
	v_add_f64 v[0:1], v[124:125], v[22:23]
	v_add_f64 v[2:3], v[26:27], v[30:31]
	;; [unrolled: 1-line block ×5, first 2 shown]
	ds_write_b128 v77, v[12:15] offset:7200
	ds_write_b128 v77, v[57:60] offset:8400
	v_add_f64 v[12:13], v[43:44], v[51:52]
	v_add_f64 v[0:1], v[0:1], v[26:27]
	v_fma_f64 v[57:58], v[2:3], -0.5, v[124:125]
	v_fma_f64 v[59:60], v[4:5], -0.5, v[124:125]
	v_add_f64 v[2:3], v[6:7], v[24:25]
	v_add_f64 v[4:5], v[8:9], v[43:44]
	;; [unrolled: 1-line block ×3, first 2 shown]
	v_add_f64 v[75:76], v[81:82], -v[85:86]
	v_add_f64 v[10:11], v[34:35], v[37:38]
	v_add_f64 v[85:86], v[37:38], v[53:54]
	;; [unrolled: 1-line block ×3, first 2 shown]
	v_add_f64 v[61:62], v[39:40], -v[55:56]
	v_add_f64 v[2:3], v[2:3], v[28:29]
	v_fma_f64 v[12:13], v[12:13], -0.5, v[32:33]
	v_fma_f64 v[18:19], v[8:9], -0.5, v[34:35]
	v_add_f64 v[63:64], v[37:38], -v[53:54]
	v_add_f64 v[73:74], v[79:80], -v[83:84]
	v_add_f64 v[6:7], v[10:11], v[41:42]
	v_add_f64 v[71:72], v[43:44], -v[51:52]
	v_add_f64 v[87:88], v[39:40], v[55:56]
	v_fma_f64 v[34:35], v[85:86], -0.5, v[34:35]
	ds_write_b128 v77, v[65:68] offset:9600
	ds_write_b128 v77, v[73:76] offset:10800
	v_add_f64 v[10:11], v[24:25], v[28:29]
	v_add_f64 v[14:15], v[20:21], v[45:46]
	;; [unrolled: 1-line block ×4, first 2 shown]
	v_add_f64 v[0:1], v[39:40], -v[43:44]
	v_add_f64 v[2:3], v[55:56], -v[51:52]
	v_add_f64 v[65:66], v[37:38], -v[41:42]
	v_add_f64 v[67:68], v[53:54], -v[49:50]
	v_fma_f64 v[69:70], v[61:62], s[10:11], v[18:19]
	v_fma_f64 v[73:74], v[63:64], s[14:15], v[12:13]
	v_add_f64 v[75:76], v[41:42], -v[49:50]
	v_add_f64 v[6:7], v[6:7], v[49:50]
	v_fma_f64 v[32:33], v[87:88], -0.5, v[32:33]
	v_add_f64 v[37:38], v[41:42], -v[37:38]
	v_add_f64 v[41:42], v[49:50], -v[53:54]
	v_fma_f64 v[49:50], v[71:72], s[14:15], v[34:35]
	v_add_f64 v[4:5], v[4:5], v[51:52]
	v_fma_f64 v[77:78], v[10:11], -0.5, v[126:127]
	v_fma_f64 v[79:80], v[14:15], -0.5, v[126:127]
	v_add_f64 v[81:82], v[0:1], v[2:3]
	v_add_f64 v[65:66], v[65:66], v[67:68]
	v_fma_f64 v[10:11], v[71:72], s[12:13], v[69:70]
	v_fma_f64 v[14:15], v[75:76], s[6:7], v[73:74]
	v_add_f64 v[67:68], v[22:23], -v[26:27]
	v_add_f64 v[69:70], v[47:48], -v[30:31]
	;; [unrolled: 1-line block ×6, first 2 shown]
	v_fma_f64 v[51:52], v[75:76], s[10:11], v[32:33]
	v_add_f64 v[37:38], v[37:38], v[41:42]
	v_fma_f64 v[41:42], v[61:62], s[12:13], v[49:50]
	v_add_f64 v[4:5], v[4:5], v[55:56]
	v_add_f64 v[6:7], v[6:7], v[53:54]
	v_fma_f64 v[10:11], v[65:66], s[4:5], v[10:11]
	v_fma_f64 v[14:15], v[81:82], s[4:5], v[14:15]
	v_add_f64 v[67:68], v[67:68], v[69:70]
	v_add_f64 v[69:70], v[73:74], v[83:84]
	v_add_f64 v[73:74], v[20:21], -v[45:46]
	v_add_f64 v[83:84], v[22:23], -v[47:48]
	;; [unrolled: 1-line block ×4, first 2 shown]
	v_add_f64 v[39:40], v[39:40], v[43:44]
	v_fma_f64 v[43:44], v[63:64], s[6:7], v[51:52]
	v_add_f64 v[22:23], v[26:27], -v[22:23]
	v_add_f64 v[26:27], v[30:31], -v[47:48]
	v_fma_f64 v[30:31], v[37:38], s[4:5], v[41:42]
	v_add_f64 v[0:1], v[16:17], v[4:5]
	v_add_f64 v[2:3], v[8:9], v[6:7]
	v_add_f64 v[4:5], v[16:17], -v[4:5]
	v_add_f64 v[6:7], v[8:9], -v[6:7]
	v_mul_f64 v[8:9], v[10:11], s[6:7]
	v_mul_f64 v[16:17], v[14:15], s[12:13]
	v_fma_f64 v[53:54], v[73:74], s[14:15], v[57:58]
	v_fma_f64 v[85:86], v[83:84], s[10:11], v[77:78]
	;; [unrolled: 1-line block ×3, first 2 shown]
	v_add_f64 v[20:21], v[24:25], -v[20:21]
	v_add_f64 v[24:25], v[28:29], -v[45:46]
	v_fma_f64 v[28:29], v[55:56], s[10:11], v[59:60]
	v_fma_f64 v[43:44], v[87:88], s[14:15], v[79:80]
	v_mul_f64 v[49:50], v[30:31], s[14:15]
	v_fma_f64 v[14:15], v[14:15], s[16:17], v[8:9]
	v_fma_f64 v[16:17], v[10:11], s[16:17], v[16:17]
	;; [unrolled: 1-line block ×6, first 2 shown]
	v_mul_f64 v[51:52], v[41:42], s[10:11]
	v_add_f64 v[22:23], v[22:23], v[26:27]
	v_add_f64 v[20:21], v[20:21], v[24:25]
	v_fma_f64 v[24:25], v[73:74], s[6:7], v[28:29]
	v_fma_f64 v[26:27], v[83:84], s[12:13], v[43:44]
	;; [unrolled: 1-line block ×13, first 2 shown]
	v_add_f64 v[8:9], v[45:46], v[14:15]
	v_add_f64 v[10:11], v[47:48], v[16:17]
	v_add_f64 v[12:13], v[45:46], -v[14:15]
	v_add_f64 v[14:15], v[47:48], -v[16:17]
	v_fma_f64 v[45:46], v[55:56], s[14:15], v[59:60]
	v_fma_f64 v[47:48], v[87:88], s[10:11], v[79:80]
	;; [unrolled: 1-line block ×10, first 2 shown]
	v_mul_f64 v[49:50], v[32:33], s[4:5]
	v_mul_f64 v[51:52], v[34:35], s[4:5]
	v_fma_f64 v[37:38], v[55:56], s[12:13], v[37:38]
	v_fma_f64 v[39:40], v[87:88], s[6:7], v[39:40]
	v_mul_f64 v[53:54], v[41:42], s[16:17]
	v_mul_f64 v[55:56], v[43:44], s[16:17]
	v_fma_f64 v[26:27], v[20:21], s[4:5], v[26:27]
	v_fma_f64 v[45:46], v[22:23], s[4:5], v[45:46]
	;; [unrolled: 1-line block ×3, first 2 shown]
	v_fma_f64 v[34:35], v[34:35], s[14:15], -v[49:50]
	v_fma_f64 v[32:33], v[32:33], s[10:11], -v[51:52]
	v_fma_f64 v[37:38], v[67:68], s[4:5], v[37:38]
	v_fma_f64 v[39:40], v[69:70], s[4:5], v[39:40]
	v_fma_f64 v[43:44], v[43:44], s[6:7], -v[53:54]
	v_fma_f64 v[41:42], v[41:42], s[12:13], -v[55:56]
	v_add_f64 v[16:17], v[24:25], v[28:29]
	v_add_f64 v[18:19], v[26:27], v[30:31]
	v_add_f64 v[20:21], v[24:25], -v[28:29]
	v_add_f64 v[22:23], v[26:27], -v[30:31]
	v_add_f64 v[24:25], v[45:46], v[34:35]
	v_add_f64 v[26:27], v[47:48], v[32:33]
	v_add_f64 v[28:29], v[45:46], -v[34:35]
	v_add_f64 v[30:31], v[47:48], -v[32:33]
	v_add_f64 v[32:33], v[37:38], v[43:44]
	v_add_f64 v[34:35], v[39:40], v[41:42]
	v_add_f64 v[39:40], v[39:40], -v[41:42]
	v_mul_u32_u24_e32 v41, 0x2ee0, v97
	v_lshlrev_b32_e32 v42, 4, v98
	v_add3_u32 v41, 0, v41, v42
	v_add_f64 v[37:38], v[37:38], -v[43:44]
	ds_write_b128 v41, v[0:3]
	ds_write_b128 v41, v[8:11] offset:1200
	ds_write_b128 v41, v[16:19] offset:2400
	ds_write_b128 v41, v[24:27] offset:3600
	ds_write_b128 v41, v[32:35] offset:4800
	ds_write_b128 v41, v[4:7] offset:6000
	ds_write_b128 v41, v[12:15] offset:7200
	ds_write_b128 v41, v[20:23] offset:8400
	ds_write_b128 v41, v[28:31] offset:9600
	ds_write_b128 v41, v[37:40] offset:10800
	v_lshlrev_b32_e32 v35, 2, v160
	v_lshlrev_b64 v[0:1], 4, v[35:36]
	s_waitcnt lgkmcnt(0)
	v_add_co_u32_e32 v2, vcc, s8, v0
	v_addc_co_u32_e32 v3, vcc, v94, v1, vcc
	v_add_co_u32_e32 v0, vcc, s18, v2
	v_addc_co_u32_e32 v1, vcc, 0, v3, vcc
	s_barrier
	global_load_dwordx4 v[4:7], v[0:1], off offset:3760
	s_movk_i32 s9, 0x2eb0
	v_add_co_u32_e32 v12, vcc, s9, v2
	v_addc_co_u32_e32 v13, vcc, 0, v3, vcc
	global_load_dwordx4 v[16:19], v[12:13], off offset:16
	global_load_dwordx4 v[0:3], v[12:13], off offset:48
	;; [unrolled: 1-line block ×3, first 2 shown]
	v_lshlrev_b32_e32 v35, 2, v167
	v_lshlrev_b64 v[12:13], 4, v[35:36]
	v_lshlrev_b32_e32 v35, 2, v168
	v_add_co_u32_e32 v20, vcc, s8, v12
	v_addc_co_u32_e32 v21, vcc, v94, v13, vcc
	v_add_co_u32_e32 v12, vcc, s18, v20
	v_addc_co_u32_e32 v13, vcc, 0, v21, vcc
	global_load_dwordx4 v[12:15], v[12:13], off offset:3760
	v_add_co_u32_e32 v32, vcc, s9, v20
	v_addc_co_u32_e32 v33, vcc, 0, v21, vcc
	global_load_dwordx4 v[20:23], v[32:33], off offset:48
	global_load_dwordx4 v[24:27], v[32:33], off offset:16
	;; [unrolled: 1-line block ×3, first 2 shown]
	v_lshlrev_b64 v[37:38], 4, v[35:36]
	ds_read_b128 v[32:35], v164 offset:12000
	ds_read_b128 v[39:42], v164 offset:10000
	v_add_co_u32_e32 v37, vcc, s8, v37
	v_addc_co_u32_e32 v38, vcc, v94, v38, vcc
	v_add_co_u32_e32 v79, vcc, s18, v37
	ds_read_b128 v[43:46], v164 offset:24000
	v_addc_co_u32_e32 v80, vcc, 0, v38, vcc
	v_add_co_u32_e32 v37, vcc, s9, v37
	v_addc_co_u32_e32 v38, vcc, 0, v38, vcc
	s_waitcnt vmcnt(7) lgkmcnt(2)
	v_mul_f64 v[47:48], v[34:35], v[6:7]
	v_mul_f64 v[6:7], v[32:33], v[6:7]
	v_fma_f64 v[127:128], v[32:33], v[4:5], -v[47:48]
	ds_read_b128 v[47:50], v164 offset:36000
	ds_read_b128 v[51:54], v164 offset:22000
	;; [unrolled: 1-line block ×3, first 2 shown]
	global_load_dwordx4 v[59:62], v[37:38], off offset:16
	global_load_dwordx4 v[63:66], v[37:38], off offset:32
	s_waitcnt vmcnt(8) lgkmcnt(3)
	v_mul_f64 v[32:33], v[45:46], v[18:19]
	global_load_dwordx4 v[79:82], v[79:80], off offset:3760
	v_mul_f64 v[18:19], v[43:44], v[18:19]
	v_fma_f64 v[129:130], v[34:35], v[4:5], v[6:7]
	v_lshlrev_b32_e32 v35, 2, v161
	v_lshlrev_b64 v[6:7], 4, v[35:36]
	s_waitcnt vmcnt(7) lgkmcnt(2)
	v_mul_f64 v[83:84], v[49:50], v[10:11]
	ds_read_b128 v[67:70], v164 offset:34000
	ds_read_b128 v[71:74], v164 offset:46000
	v_fma_f64 v[131:132], v[43:44], v[16:17], -v[32:33]
	v_add_co_u32_e32 v32, vcc, s8, v6
	v_addc_co_u32_e32 v33, vcc, v94, v7, vcc
	v_add_co_u32_e32 v6, vcc, s18, v32
	v_fma_f64 v[133:134], v[45:46], v[16:17], v[18:19]
	global_load_dwordx4 v[16:19], v[37:38], off offset:48
	v_addc_co_u32_e32 v7, vcc, 0, v33, vcc
	global_load_dwordx4 v[43:46], v[6:7], off offset:3760
	v_add_co_u32_e32 v6, vcc, s9, v32
	v_addc_co_u32_e32 v7, vcc, 0, v33, vcc
	s_waitcnt lgkmcnt(2)
	v_mul_f64 v[119:120], v[57:58], v[2:3]
	ds_read_b128 v[75:78], v164 offset:14000
	v_mul_f64 v[121:122], v[55:56], v[2:3]
	ds_read_b128 v[2:5], v164 offset:16000
	v_fma_f64 v[135:136], v[47:48], v[8:9], -v[83:84]
	global_load_dwordx4 v[83:86], v[6:7], off offset:16
	global_load_dwordx4 v[87:90], v[6:7], off offset:32
	;; [unrolled: 1-line block ×3, first 2 shown]
	v_lshlrev_b32_e32 v35, 2, v165
	v_lshlrev_b64 v[6:7], 4, v[35:36]
	v_lshlrev_b32_e32 v35, 2, v166
	v_add_co_u32_e32 v32, vcc, s8, v6
	v_addc_co_u32_e32 v33, vcc, v94, v7, vcc
	v_add_co_u32_e32 v6, vcc, s18, v32
	v_addc_co_u32_e32 v7, vcc, 0, v33, vcc
	;; [unrolled: 2-line block ×3, first 2 shown]
	global_load_dwordx4 v[99:102], v[32:33], off offset:16
	global_load_dwordx4 v[103:106], v[32:33], off offset:32
	;; [unrolled: 1-line block ×4, first 2 shown]
	v_lshlrev_b64 v[6:7], 4, v[35:36]
	v_mul_f64 v[10:11], v[47:48], v[10:11]
	v_add_co_u32_e32 v37, vcc, s8, v6
	v_addc_co_u32_e32 v38, vcc, v94, v7, vcc
	v_add_co_u32_e32 v6, vcc, s18, v37
	v_addc_co_u32_e32 v7, vcc, 0, v38, vcc
	global_load_dwordx4 v[32:35], v[6:7], off offset:3760
	v_add_co_u32_e32 v37, vcc, s9, v37
	v_addc_co_u32_e32 v38, vcc, 0, v38, vcc
	global_load_dwordx4 v[115:118], v[37:38], off offset:16
	s_waitcnt vmcnt(17) lgkmcnt(1)
	v_mul_f64 v[123:124], v[77:78], v[14:15]
	v_fma_f64 v[137:138], v[49:50], v[8:9], v[10:11]
	v_mul_f64 v[10:11], v[75:76], v[14:15]
	global_load_dwordx4 v[47:50], v[37:38], off offset:32
	ds_read_b128 v[91:94], v164 offset:26000
	ds_read_b128 v[6:9], v164 offset:28000
	v_fma_f64 v[139:140], v[55:56], v[0:1], -v[119:120]
	v_fma_f64 v[141:142], v[57:58], v[0:1], v[121:122]
	ds_read_b128 v[55:58], v164 offset:38000
	v_fma_f64 v[143:144], v[75:76], v[12:13], -v[123:124]
	v_fma_f64 v[145:146], v[77:78], v[12:13], v[10:11]
	ds_read_b128 v[10:13], v164 offset:50000
	ds_read_b128 v[75:78], v164 offset:40000
	global_load_dwordx4 v[119:122], v[37:38], off offset:48
	s_waitcnt vmcnt(17) lgkmcnt(4)
	v_mul_f64 v[14:15], v[93:94], v[26:27]
	v_mul_f64 v[0:1], v[91:92], v[26:27]
	s_waitcnt vmcnt(16) lgkmcnt(2)
	v_mul_f64 v[26:27], v[55:56], v[30:31]
	ds_read_b128 v[123:126], v164 offset:52000
	v_fma_f64 v[91:92], v[91:92], v[24:25], -v[14:15]
	v_mul_f64 v[14:15], v[57:58], v[30:31]
	s_waitcnt lgkmcnt(2)
	v_mul_f64 v[30:31], v[12:13], v[22:23]
	v_fma_f64 v[37:38], v[93:94], v[24:25], v[0:1]
	v_mul_f64 v[0:1], v[10:11], v[22:23]
	s_waitcnt vmcnt(13)
	v_mul_f64 v[22:23], v[4:5], v[81:82]
	v_mul_f64 v[24:25], v[2:3], v[81:82]
	;; [unrolled: 1-line block ×3, first 2 shown]
	v_fma_f64 v[57:58], v[57:58], v[28:29], v[26:27]
	v_fma_f64 v[55:56], v[55:56], v[28:29], -v[14:15]
	v_fma_f64 v[93:94], v[10:11], v[20:21], -v[30:31]
	v_mul_f64 v[10:11], v[6:7], v[61:62]
	v_fma_f64 v[61:62], v[12:13], v[20:21], v[0:1]
	v_fma_f64 v[147:148], v[2:3], v[79:80], -v[22:23]
	ds_read_b128 v[0:3], v164 offset:18000
	s_waitcnt lgkmcnt(2)
	v_mul_f64 v[12:13], v[77:78], v[65:66]
	v_mul_f64 v[20:21], v[75:76], v[65:66]
	s_waitcnt vmcnt(12) lgkmcnt(1)
	v_mul_f64 v[22:23], v[125:126], v[18:19]
	v_mul_f64 v[18:19], v[123:124], v[18:19]
	v_fma_f64 v[79:80], v[4:5], v[79:80], v[24:25]
	v_fma_f64 v[81:82], v[6:7], v[59:60], -v[81:82]
	v_fma_f64 v[59:60], v[8:9], v[59:60], v[10:11]
	ds_read_b128 v[4:7], v164 offset:30000
	ds_read_b128 v[8:11], v164 offset:20000
	s_waitcnt vmcnt(11) lgkmcnt(2)
	v_mul_f64 v[24:25], v[2:3], v[45:46]
	v_mul_f64 v[26:27], v[0:1], v[45:46]
	v_fma_f64 v[65:66], v[75:76], v[63:64], -v[12:13]
	s_waitcnt vmcnt(10) lgkmcnt(1)
	v_mul_f64 v[28:29], v[6:7], v[85:86]
	v_mul_f64 v[30:31], v[4:5], v[85:86]
	ds_read_b128 v[12:15], v164 offset:32000
	v_fma_f64 v[63:64], v[77:78], v[63:64], v[20:21]
	v_fma_f64 v[75:76], v[123:124], v[16:17], -v[22:23]
	v_fma_f64 v[77:78], v[125:126], v[16:17], v[18:19]
	ds_read_b128 v[16:19], v164 offset:42000
	v_fma_f64 v[85:86], v[0:1], v[43:44], -v[24:25]
	v_fma_f64 v[123:124], v[2:3], v[43:44], v[26:27]
	ds_read_b128 v[0:3], v164 offset:54000
	ds_read_b128 v[20:23], v164 offset:44000
	v_fma_f64 v[125:126], v[4:5], v[83:84], -v[28:29]
	s_waitcnt vmcnt(9) lgkmcnt(2)
	v_mul_f64 v[4:5], v[18:19], v[89:90]
	v_fma_f64 v[83:84], v[6:7], v[83:84], v[30:31]
	s_waitcnt vmcnt(8) lgkmcnt(1)
	v_mul_f64 v[43:44], v[2:3], v[97:98]
	v_mul_f64 v[6:7], v[0:1], v[97:98]
	s_waitcnt vmcnt(5)
	v_mul_f64 v[30:31], v[10:11], v[109:110]
	v_mul_f64 v[45:46], v[8:9], v[109:110]
	;; [unrolled: 1-line block ×4, first 2 shown]
	v_fma_f64 v[97:98], v[16:17], v[87:88], -v[4:5]
	s_waitcnt lgkmcnt(0)
	v_mul_f64 v[4:5], v[20:21], v[105:106]
	v_fma_f64 v[109:110], v[0:1], v[95:96], -v[43:44]
	v_mul_f64 v[0:1], v[12:13], v[101:102]
	v_fma_f64 v[95:96], v[2:3], v[95:96], v[6:7]
	v_mul_f64 v[2:3], v[22:23], v[105:106]
	ds_read_b128 v[24:27], v164 offset:56000
	v_fma_f64 v[101:102], v[8:9], v[107:108], -v[30:31]
	v_fma_f64 v[107:108], v[10:11], v[107:108], v[45:46]
	s_waitcnt vmcnt(3)
	v_mul_f64 v[8:9], v[53:54], v[34:35]
	v_mul_f64 v[10:11], v[51:52], v[34:35]
	v_fma_f64 v[149:150], v[12:13], v[99:100], -v[89:90]
	s_waitcnt lgkmcnt(0)
	v_mul_f64 v[6:7], v[26:27], v[113:114]
	v_fma_f64 v[99:100], v[14:15], v[99:100], v[0:1]
	v_mul_f64 v[0:1], v[24:25], v[113:114]
	s_waitcnt vmcnt(2)
	v_mul_f64 v[12:13], v[69:70], v[117:118]
	v_fma_f64 v[105:106], v[20:21], v[103:104], -v[2:3]
	v_fma_f64 v[103:104], v[22:23], v[103:104], v[4:5]
	v_mul_f64 v[4:5], v[67:68], v[117:118]
	v_fma_f64 v[117:118], v[51:52], v[32:33], -v[8:9]
	v_fma_f64 v[151:152], v[53:54], v[32:33], v[10:11]
	s_waitcnt vmcnt(1)
	v_mul_f64 v[8:9], v[73:74], v[49:50]
	v_add_f64 v[10:11], v[131:132], v[135:136]
	v_mul_f64 v[14:15], v[71:72], v[49:50]
	v_fma_f64 v[113:114], v[24:25], v[111:112], -v[6:7]
	v_fma_f64 v[111:112], v[26:27], v[111:112], v[0:1]
	v_fma_f64 v[153:154], v[67:68], v[115:116], -v[12:13]
	ds_read_b128 v[0:3], v164 offset:58000
	v_fma_f64 v[115:116], v[69:70], v[115:116], v[4:5]
	ds_read_b128 v[4:7], v164
	v_add_f64 v[12:13], v[133:134], v[137:138]
	v_fma_f64 v[87:88], v[18:19], v[87:88], v[28:29]
	s_waitcnt vmcnt(0) lgkmcnt(1)
	v_mul_f64 v[16:17], v[2:3], v[121:122]
	v_mul_f64 v[18:19], v[0:1], v[121:122]
	v_fma_f64 v[121:122], v[71:72], v[47:48], -v[8:9]
	s_waitcnt lgkmcnt(0)
	v_fma_f64 v[8:9], v[10:11], -0.5, v[4:5]
	v_add_f64 v[20:21], v[129:130], -v[141:142]
	v_fma_f64 v[155:156], v[73:74], v[47:48], v[14:15]
	v_add_f64 v[14:15], v[127:128], -v[131:132]
	v_add_f64 v[22:23], v[139:140], -v[135:136]
	v_fma_f64 v[10:11], v[12:13], -0.5, v[6:7]
	v_add_f64 v[12:13], v[127:128], -v[139:140]
	v_add_f64 v[24:25], v[129:130], -v[133:134]
	;; [unrolled: 1-line block ×3, first 2 shown]
	v_fma_f64 v[28:29], v[20:21], s[14:15], v[8:9]
	v_add_f64 v[30:31], v[133:134], -v[137:138]
	v_fma_f64 v[8:9], v[20:21], s[10:11], v[8:9]
	v_add_f64 v[14:15], v[14:15], v[22:23]
	v_add_f64 v[22:23], v[129:130], v[141:142]
	v_fma_f64 v[32:33], v[12:13], s[10:11], v[10:11]
	v_add_f64 v[34:35], v[131:132], -v[135:136]
	v_fma_f64 v[10:11], v[12:13], s[14:15], v[10:11]
	v_fma_f64 v[157:158], v[0:1], v[119:120], -v[16:17]
	v_fma_f64 v[119:120], v[2:3], v[119:120], v[18:19]
	v_add_f64 v[18:19], v[127:128], v[139:140]
	v_fma_f64 v[0:1], v[30:31], s[6:7], v[28:29]
	v_add_f64 v[16:17], v[24:25], v[26:27]
	v_fma_f64 v[8:9], v[30:31], s[12:13], v[8:9]
	v_add_f64 v[24:25], v[4:5], v[127:128]
	v_add_f64 v[26:27], v[6:7], v[129:130]
	v_fma_f64 v[6:7], v[22:23], -0.5, v[6:7]
	v_fma_f64 v[2:3], v[34:35], s[12:13], v[32:33]
	v_fma_f64 v[10:11], v[34:35], s[6:7], v[10:11]
	v_fma_f64 v[4:5], v[18:19], -0.5, v[4:5]
	v_fma_f64 v[0:1], v[14:15], s[4:5], v[0:1]
	v_fma_f64 v[8:9], v[14:15], s[4:5], v[8:9]
	v_add_f64 v[14:15], v[24:25], v[131:132]
	v_add_f64 v[18:19], v[26:27], v[133:134]
	v_add_f64 v[24:25], v[133:134], -v[129:130]
	v_add_f64 v[26:27], v[137:138], -v[141:142]
	v_fma_f64 v[32:33], v[34:35], s[14:15], v[6:7]
	v_fma_f64 v[2:3], v[16:17], s[4:5], v[2:3]
	;; [unrolled: 1-line block ×3, first 2 shown]
	v_add_f64 v[16:17], v[131:132], -v[127:128]
	v_add_f64 v[22:23], v[135:136], -v[139:140]
	v_fma_f64 v[28:29], v[30:31], s[10:11], v[4:5]
	v_fma_f64 v[4:5], v[30:31], s[14:15], v[4:5]
	;; [unrolled: 1-line block ×3, first 2 shown]
	v_add_f64 v[26:27], v[24:25], v[26:27]
	v_fma_f64 v[24:25], v[12:13], s[12:13], v[32:33]
	v_add_f64 v[32:33], v[91:92], v[55:56]
	v_add_f64 v[43:44], v[37:38], v[57:58]
	v_add_f64 v[30:31], v[16:17], v[22:23]
	v_add_f64 v[16:17], v[18:19], v[137:138]
	v_fma_f64 v[18:19], v[20:21], s[6:7], v[28:29]
	v_fma_f64 v[28:29], v[20:21], s[12:13], v[4:5]
	;; [unrolled: 1-line block ×3, first 2 shown]
	ds_read_b128 v[4:7], v164 offset:2000
	ds_read_b128 v[20:23], v164 offset:4000
	v_add_f64 v[45:46], v[145:146], -v[61:62]
	v_add_f64 v[14:15], v[14:15], v[135:136]
	v_add_f64 v[47:48], v[143:144], -v[93:94]
	s_waitcnt lgkmcnt(1)
	v_fma_f64 v[32:33], v[32:33], -0.5, v[4:5]
	v_fma_f64 v[43:44], v[43:44], -0.5, v[6:7]
	v_add_f64 v[49:50], v[143:144], -v[91:92]
	v_add_f64 v[51:52], v[93:94], -v[55:56]
	;; [unrolled: 1-line block ×4, first 2 shown]
	v_add_f64 v[12:13], v[14:15], v[139:140]
	v_add_f64 v[14:15], v[16:17], v[141:142]
	v_fma_f64 v[69:70], v[45:46], s[14:15], v[32:33]
	v_fma_f64 v[16:17], v[30:31], s[4:5], v[18:19]
	;; [unrolled: 1-line block ×3, first 2 shown]
	v_add_f64 v[67:68], v[61:62], -v[57:58]
	v_fma_f64 v[73:74], v[47:48], s[10:11], v[43:44]
	v_add_f64 v[89:90], v[91:92], -v[55:56]
	v_fma_f64 v[24:25], v[30:31], s[4:5], v[28:29]
	v_fma_f64 v[28:29], v[45:46], s[10:11], v[32:33]
	;; [unrolled: 1-line block ×3, first 2 shown]
	v_add_f64 v[32:33], v[49:50], v[51:52]
	v_add_f64 v[51:52], v[143:144], v[93:94]
	v_fma_f64 v[49:50], v[71:72], s[6:7], v[69:70]
	v_add_f64 v[43:44], v[53:54], v[67:68]
	v_fma_f64 v[53:54], v[89:90], s[12:13], v[73:74]
	v_fma_f64 v[26:27], v[26:27], s[4:5], v[34:35]
	v_fma_f64 v[34:35], v[71:72], s[12:13], v[28:29]
	v_fma_f64 v[67:68], v[89:90], s[6:7], v[30:31]
	v_add_f64 v[69:70], v[145:146], v[61:62]
	v_add_f64 v[73:74], v[4:5], v[143:144]
	v_fma_f64 v[4:5], v[51:52], -0.5, v[4:5]
	v_fma_f64 v[28:29], v[32:33], s[4:5], v[49:50]
	v_add_f64 v[49:50], v[6:7], v[145:146]
	v_fma_f64 v[30:31], v[43:44], s[4:5], v[53:54]
	v_fma_f64 v[32:33], v[32:33], s[4:5], v[34:35]
	;; [unrolled: 1-line block ×3, first 2 shown]
	v_fma_f64 v[6:7], v[69:70], -0.5, v[6:7]
	v_add_f64 v[43:44], v[73:74], v[91:92]
	v_add_f64 v[51:52], v[91:92], -v[143:144]
	v_fma_f64 v[53:54], v[71:72], s[10:11], v[4:5]
	v_add_f64 v[67:68], v[55:56], -v[93:94]
	v_fma_f64 v[4:5], v[71:72], s[14:15], v[4:5]
	v_add_f64 v[49:50], v[49:50], v[37:38]
	v_add_f64 v[37:38], v[37:38], -v[145:146]
	v_add_f64 v[69:70], v[57:58], -v[61:62]
	v_fma_f64 v[73:74], v[89:90], s[14:15], v[6:7]
	v_fma_f64 v[6:7], v[89:90], s[10:11], v[6:7]
	v_add_f64 v[43:44], v[43:44], v[55:56]
	v_add_f64 v[51:52], v[51:52], v[67:68]
	v_fma_f64 v[53:54], v[45:46], s[6:7], v[53:54]
	v_fma_f64 v[67:68], v[45:46], s[12:13], v[4:5]
	v_add_f64 v[71:72], v[59:60], v[63:64]
	v_add_f64 v[49:50], v[49:50], v[57:58]
	;; [unrolled: 1-line block ×4, first 2 shown]
	v_fma_f64 v[55:56], v[47:48], s[12:13], v[73:74]
	v_fma_f64 v[69:70], v[47:48], s[6:7], v[6:7]
	v_add_f64 v[4:5], v[43:44], v[93:94]
	v_fma_f64 v[43:44], v[51:52], s[4:5], v[53:54]
	v_fma_f64 v[47:48], v[51:52], s[4:5], v[67:68]
	s_waitcnt lgkmcnt(0)
	v_fma_f64 v[51:52], v[71:72], -0.5, v[22:23]
	v_add_f64 v[67:68], v[147:148], -v[75:76]
	v_add_f64 v[6:7], v[49:50], v[61:62]
	v_fma_f64 v[53:54], v[57:58], -0.5, v[20:21]
	v_add_f64 v[61:62], v[79:80], -v[77:78]
	v_fma_f64 v[45:46], v[37:38], s[4:5], v[55:56]
	v_add_f64 v[55:56], v[147:148], -v[81:82]
	v_add_f64 v[57:58], v[75:76], -v[65:66]
	;; [unrolled: 1-line block ×4, first 2 shown]
	v_fma_f64 v[49:50], v[37:38], s[4:5], v[69:70]
	v_fma_f64 v[37:38], v[67:68], s[10:11], v[51:52]
	v_add_f64 v[69:70], v[81:82], -v[65:66]
	v_fma_f64 v[89:90], v[61:62], s[14:15], v[53:54]
	v_add_f64 v[91:92], v[59:60], -v[63:64]
	v_fma_f64 v[53:54], v[61:62], s[10:11], v[53:54]
	v_add_f64 v[55:56], v[55:56], v[57:58]
	v_add_f64 v[57:58], v[71:72], v[73:74]
	;; [unrolled: 1-line block ×3, first 2 shown]
	v_fma_f64 v[51:52], v[67:68], s[14:15], v[51:52]
	v_fma_f64 v[37:38], v[69:70], s[12:13], v[37:38]
	v_add_f64 v[73:74], v[20:21], v[147:148]
	v_fma_f64 v[71:72], v[91:92], s[6:7], v[89:90]
	v_add_f64 v[89:90], v[147:148], v[75:76]
	;; [unrolled: 2-line block ×3, first 2 shown]
	v_add_f64 v[133:134], v[125:126], -v[97:98]
	v_fma_f64 v[127:128], v[69:70], s[6:7], v[51:52]
	v_fma_f64 v[53:54], v[57:58], s[4:5], v[37:38]
	v_add_f64 v[37:38], v[131:132], v[59:60]
	v_fma_f64 v[51:52], v[55:56], s[4:5], v[71:72]
	v_add_f64 v[71:72], v[73:74], v[81:82]
	v_fma_f64 v[20:21], v[89:90], -0.5, v[20:21]
	v_fma_f64 v[22:23], v[129:130], -0.5, v[22:23]
	v_add_f64 v[73:74], v[81:82], -v[147:148]
	v_add_f64 v[59:60], v[59:60], -v[79:80]
	;; [unrolled: 1-line block ×3, first 2 shown]
	v_add_f64 v[37:38], v[37:38], v[63:64]
	v_fma_f64 v[55:56], v[55:56], s[4:5], v[93:94]
	v_add_f64 v[71:72], v[71:72], v[65:66]
	v_fma_f64 v[81:82], v[91:92], s[10:11], v[20:21]
	v_add_f64 v[65:66], v[65:66], -v[75:76]
	v_fma_f64 v[63:64], v[91:92], s[14:15], v[20:21]
	v_fma_f64 v[89:90], v[69:70], s[14:15], v[22:23]
	;; [unrolled: 1-line block ×3, first 2 shown]
	v_add_f64 v[22:23], v[37:38], v[77:78]
	v_add_f64 v[37:38], v[125:126], v[97:98]
	;; [unrolled: 1-line block ×3, first 2 shown]
	v_fma_f64 v[57:58], v[57:58], s[4:5], v[127:128]
	v_add_f64 v[71:72], v[73:74], v[65:66]
	v_fma_f64 v[65:66], v[61:62], s[6:7], v[81:82]
	v_add_f64 v[73:74], v[59:60], v[79:80]
	v_fma_f64 v[77:78], v[61:62], s[12:13], v[63:64]
	ds_read_b128 v[59:62], v164 offset:6000
	v_fma_f64 v[75:76], v[67:68], s[12:13], v[89:90]
	v_add_f64 v[79:80], v[83:84], v[87:88]
	v_fma_f64 v[81:82], v[67:68], s[6:7], v[69:70]
	ds_read_b128 v[67:70], v164 offset:8000
	s_waitcnt lgkmcnt(1)
	v_fma_f64 v[37:38], v[37:38], -0.5, v[59:60]
	v_add_f64 v[89:90], v[123:124], -v[95:96]
	v_fma_f64 v[63:64], v[71:72], s[4:5], v[65:66]
	v_fma_f64 v[71:72], v[71:72], s[4:5], v[77:78]
	v_fma_f64 v[65:66], v[73:74], s[4:5], v[75:76]
	v_fma_f64 v[75:76], v[79:80], -0.5, v[61:62]
	v_add_f64 v[91:92], v[85:86], -v[109:110]
	v_add_f64 v[77:78], v[85:86], -v[125:126]
	;; [unrolled: 1-line block ×5, first 2 shown]
	v_fma_f64 v[129:130], v[89:90], s[14:15], v[37:38]
	v_add_f64 v[131:132], v[83:84], -v[87:88]
	v_fma_f64 v[37:38], v[89:90], s[10:11], v[37:38]
	v_fma_f64 v[73:74], v[73:74], s[4:5], v[81:82]
	;; [unrolled: 1-line block ×3, first 2 shown]
	v_add_f64 v[79:80], v[77:78], v[79:80]
	v_fma_f64 v[75:76], v[91:92], s[14:15], v[75:76]
	v_add_f64 v[93:94], v[93:94], v[127:128]
	v_add_f64 v[127:128], v[59:60], v[85:86]
	v_fma_f64 v[77:78], v[131:132], s[6:7], v[129:130]
	v_add_f64 v[129:130], v[85:86], v[109:110]
	;; [unrolled: 3-line block ×3, first 2 shown]
	v_fma_f64 v[81:82], v[133:134], s[12:13], v[81:82]
	v_fma_f64 v[137:138], v[133:134], s[6:7], v[75:76]
	v_add_f64 v[127:128], v[127:128], v[125:126]
	v_fma_f64 v[75:76], v[79:80], s[4:5], v[77:78]
	v_fma_f64 v[59:60], v[129:130], -0.5, v[59:60]
	v_add_f64 v[129:130], v[135:136], v[83:84]
	v_fma_f64 v[79:80], v[79:80], s[4:5], v[37:38]
	v_fma_f64 v[37:38], v[139:140], -0.5, v[61:62]
	v_fma_f64 v[77:78], v[93:94], s[4:5], v[81:82]
	v_fma_f64 v[81:82], v[93:94], s[4:5], v[137:138]
	v_add_f64 v[61:62], v[125:126], -v[85:86]
	v_add_f64 v[85:86], v[127:128], v[97:98]
	v_fma_f64 v[93:94], v[131:132], s[10:11], v[59:60]
	v_add_f64 v[97:98], v[97:98], -v[109:110]
	v_add_f64 v[125:126], v[129:130], v[87:88]
	v_add_f64 v[83:84], v[83:84], -v[123:124]
	v_add_f64 v[87:88], v[87:88], -v[95:96]
	v_fma_f64 v[123:124], v[133:134], s[14:15], v[37:38]
	v_fma_f64 v[127:128], v[131:132], s[14:15], v[59:60]
	;; [unrolled: 1-line block ×3, first 2 shown]
	v_add_f64 v[59:60], v[85:86], v[109:110]
	v_add_f64 v[97:98], v[61:62], v[97:98]
	v_fma_f64 v[85:86], v[89:90], s[6:7], v[93:94]
	v_add_f64 v[61:62], v[125:126], v[95:96]
	v_add_f64 v[93:94], v[83:84], v[87:88]
	v_fma_f64 v[87:88], v[91:92], s[12:13], v[123:124]
	v_add_f64 v[95:96], v[149:150], v[105:106]
	v_fma_f64 v[89:90], v[89:90], s[12:13], v[127:128]
	;; [unrolled: 2-line block ×3, first 2 shown]
	v_add_f64 v[91:92], v[101:102], -v[149:150]
	v_add_f64 v[123:124], v[113:114], -v[105:106]
	v_fma_f64 v[83:84], v[97:98], s[4:5], v[85:86]
	v_fma_f64 v[85:86], v[93:94], s[4:5], v[87:88]
	s_waitcnt lgkmcnt(0)
	v_fma_f64 v[95:96], v[95:96], -0.5, v[67:68]
	v_add_f64 v[125:126], v[107:108], -v[111:112]
	v_fma_f64 v[109:110], v[109:110], -0.5, v[69:70]
	v_add_f64 v[127:128], v[101:102], -v[113:114]
	v_fma_f64 v[87:88], v[97:98], s[4:5], v[89:90]
	v_fma_f64 v[89:90], v[93:94], s[4:5], v[37:38]
	v_add_f64 v[37:38], v[91:92], v[123:124]
	v_add_f64 v[91:92], v[107:108], -v[99:100]
	v_add_f64 v[93:94], v[111:112], -v[103:104]
	v_fma_f64 v[97:98], v[125:126], s[14:15], v[95:96]
	v_add_f64 v[123:124], v[99:100], -v[103:104]
	v_fma_f64 v[129:130], v[127:128], s[10:11], v[109:110]
	;; [unrolled: 2-line block ×3, first 2 shown]
	v_add_f64 v[133:134], v[67:68], v[101:102]
	v_add_f64 v[135:136], v[69:70], v[107:108]
	v_fma_f64 v[109:110], v[127:128], s[14:15], v[109:110]
	v_add_f64 v[137:138], v[91:92], v[93:94]
	v_add_f64 v[93:94], v[101:102], v[113:114]
	v_fma_f64 v[91:92], v[123:124], s[6:7], v[97:98]
	v_fma_f64 v[97:98], v[131:132], s[12:13], v[129:130]
	;; [unrolled: 1-line block ×3, first 2 shown]
	v_add_f64 v[129:130], v[133:134], v[149:150]
	v_add_f64 v[133:134], v[135:136], v[99:100]
	v_fma_f64 v[109:110], v[131:132], s[6:7], v[109:110]
	v_add_f64 v[135:136], v[107:108], v[111:112]
	v_fma_f64 v[67:68], v[93:94], -0.5, v[67:68]
	v_fma_f64 v[91:92], v[37:38], s[4:5], v[91:92]
	v_fma_f64 v[93:94], v[137:138], s[4:5], v[97:98]
	v_fma_f64 v[95:96], v[37:38], s[4:5], v[95:96]
	v_add_f64 v[37:38], v[129:130], v[105:106]
	v_add_f64 v[129:130], v[133:134], v[103:104]
	v_fma_f64 v[97:98], v[137:138], s[4:5], v[109:110]
	v_fma_f64 v[109:110], v[135:136], -0.5, v[69:70]
	v_add_f64 v[101:102], v[149:150], -v[101:102]
	v_fma_f64 v[133:134], v[123:124], s[10:11], v[67:68]
	v_add_f64 v[105:106], v[105:106], -v[113:114]
	v_fma_f64 v[123:124], v[123:124], s[14:15], v[67:68]
	v_add_f64 v[67:68], v[37:38], v[113:114]
	v_add_f64 v[69:70], v[129:130], v[111:112]
	v_add_f64 v[37:38], v[99:100], -v[107:108]
	v_add_f64 v[99:100], v[103:104], -v[111:112]
	v_fma_f64 v[103:104], v[131:132], s[14:15], v[109:110]
	v_add_f64 v[107:108], v[153:154], v[121:122]
	v_fma_f64 v[109:110], v[131:132], s[10:11], v[109:110]
	v_add_f64 v[105:106], v[101:102], v[105:106]
	v_add_f64 v[101:102], v[115:116], v[155:156]
	v_fma_f64 v[111:112], v[125:126], s[6:7], v[133:134]
	v_fma_f64 v[113:114], v[125:126], s[12:13], v[123:124]
	v_add_f64 v[37:38], v[37:38], v[99:100]
	v_fma_f64 v[103:104], v[127:128], s[12:13], v[103:104]
	v_fma_f64 v[107:108], v[107:108], -0.5, v[39:40]
	v_add_f64 v[123:124], v[151:152], -v[119:120]
	v_fma_f64 v[109:110], v[127:128], s[6:7], v[109:110]
	v_fma_f64 v[125:126], v[101:102], -0.5, v[41:42]
	v_add_f64 v[127:128], v[117:118], -v[157:158]
	v_fma_f64 v[99:100], v[105:106], s[4:5], v[111:112]
	v_add_f64 v[111:112], v[117:118], -v[153:154]
	v_add_f64 v[129:130], v[157:158], -v[121:122]
	;; [unrolled: 1-line block ×4, first 2 shown]
	v_fma_f64 v[133:134], v[123:124], s[14:15], v[107:108]
	v_add_f64 v[135:136], v[115:116], -v[155:156]
	v_fma_f64 v[139:140], v[127:128], s[10:11], v[125:126]
	v_add_f64 v[141:142], v[153:154], -v[121:122]
	v_fma_f64 v[101:102], v[37:38], s[4:5], v[103:104]
	v_fma_f64 v[103:104], v[105:106], s[4:5], v[113:114]
	;; [unrolled: 1-line block ×3, first 2 shown]
	v_add_f64 v[109:110], v[111:112], v[129:130]
	v_add_f64 v[111:112], v[117:118], v[157:158]
	;; [unrolled: 1-line block ×4, first 2 shown]
	v_fma_f64 v[37:38], v[135:136], s[6:7], v[133:134]
	v_fma_f64 v[129:130], v[141:142], s[12:13], v[139:140]
	v_add_f64 v[133:134], v[39:40], v[117:118]
	v_add_f64 v[137:138], v[41:42], v[151:152]
	v_fma_f64 v[107:108], v[123:124], s[10:11], v[107:108]
	v_fma_f64 v[111:112], v[111:112], -0.5, v[39:40]
	v_fma_f64 v[125:126], v[127:128], s[14:15], v[125:126]
	v_fma_f64 v[41:42], v[131:132], -0.5, v[41:42]
	v_add_f64 v[117:118], v[153:154], -v[117:118]
	v_fma_f64 v[39:40], v[113:114], s[4:5], v[129:130]
	v_add_f64 v[129:130], v[133:134], v[153:154]
	v_add_f64 v[133:134], v[137:138], v[115:116]
	v_add_f64 v[137:138], v[121:122], -v[157:158]
	v_fma_f64 v[131:132], v[135:136], s[10:11], v[111:112]
	v_add_f64 v[115:116], v[115:116], -v[151:152]
	v_add_f64 v[139:140], v[155:156], -v[119:120]
	v_fma_f64 v[143:144], v[141:142], s[14:15], v[41:42]
	v_fma_f64 v[111:112], v[135:136], s[14:15], v[111:112]
	;; [unrolled: 1-line block ×5, first 2 shown]
	v_add_f64 v[121:122], v[129:130], v[121:122]
	v_add_f64 v[129:130], v[133:134], v[155:156]
	;; [unrolled: 1-line block ×3, first 2 shown]
	v_fma_f64 v[117:118], v[123:124], s[6:7], v[131:132]
	v_add_f64 v[131:132], v[115:116], v[139:140]
	v_fma_f64 v[135:136], v[127:128], s[12:13], v[143:144]
	v_fma_f64 v[123:124], v[123:124], s[12:13], v[111:112]
	;; [unrolled: 1-line block ×6, first 2 shown]
	v_add_f64 v[111:112], v[121:122], v[157:158]
	v_add_f64 v[113:114], v[129:130], v[119:120]
	v_fma_f64 v[115:116], v[133:134], s[4:5], v[117:118]
	v_fma_f64 v[117:118], v[131:132], s[4:5], v[135:136]
	;; [unrolled: 1-line block ×4, first 2 shown]
	s_barrier
	ds_write_b128 v164, v[12:15]
	ds_write_b128 v164, v[0:3] offset:12000
	ds_write_b128 v164, v[16:19] offset:24000
	;; [unrolled: 1-line block ×29, first 2 shown]
	s_waitcnt lgkmcnt(0)
	s_barrier
	s_and_saveexec_b64 s[4:5], s[0:1]
	s_cbranch_execz .LBB0_19
; %bb.18:
	v_lshl_add_u32 v14, v160, 4, 0
	v_mov_b32_e32 v161, v36
	ds_read_b128 v[0:3], v14
	v_mov_b32_e32 v4, s3
	v_add_co_u32_e32 v15, vcc, s2, v162
	v_addc_co_u32_e32 v16, vcc, v4, v163, vcc
	v_lshlrev_b64 v[4:5], 4, v[160:161]
	v_add_u32_e32 v35, 0x7d, v160
	v_add_co_u32_e32 v8, vcc, v15, v4
	v_addc_co_u32_e32 v9, vcc, v16, v5, vcc
	ds_read_b128 v[4:7], v14 offset:58000
	s_waitcnt lgkmcnt(1)
	global_store_dwordx4 v[8:9], v[0:3], off
	ds_read_b128 v[0:3], v14 offset:2000
	v_lshlrev_b64 v[8:9], 4, v[35:36]
	v_add_u32_e32 v35, 0xfa, v160
	v_add_co_u32_e32 v12, vcc, v15, v8
	v_addc_co_u32_e32 v13, vcc, v16, v9, vcc
	ds_read_b128 v[8:11], v14 offset:4000
	s_waitcnt lgkmcnt(1)
	global_store_dwordx4 v[12:13], v[0:3], off
	s_nop 0
	v_lshlrev_b64 v[0:1], 4, v[35:36]
	v_add_u32_e32 v35, 0x177, v160
	v_add_co_u32_e32 v0, vcc, v15, v0
	v_addc_co_u32_e32 v1, vcc, v16, v1, vcc
	s_waitcnt lgkmcnt(0)
	global_store_dwordx4 v[0:1], v[8:11], off
	ds_read_b128 v[0:3], v14 offset:6000
	v_lshlrev_b64 v[8:9], 4, v[35:36]
	v_add_u32_e32 v35, 0x1f4, v160
	v_add_co_u32_e32 v12, vcc, v15, v8
	v_addc_co_u32_e32 v13, vcc, v16, v9, vcc
	ds_read_b128 v[8:11], v14 offset:8000
	s_waitcnt lgkmcnt(1)
	global_store_dwordx4 v[12:13], v[0:3], off
	s_nop 0
	v_lshlrev_b64 v[0:1], 4, v[35:36]
	v_add_u32_e32 v35, 0x271, v160
	v_add_co_u32_e32 v0, vcc, v15, v0
	v_addc_co_u32_e32 v1, vcc, v16, v1, vcc
	;; [unrolled: 15-line block ×14, first 2 shown]
	s_waitcnt lgkmcnt(0)
	global_store_dwordx4 v[0:1], v[8:11], off
	v_lshlrev_b64 v[0:1], 4, v[35:36]
	v_add_co_u32_e32 v0, vcc, v15, v0
	v_addc_co_u32_e32 v1, vcc, v16, v1, vcc
	global_store_dwordx4 v[0:1], v[4:7], off
.LBB0_19:
	s_endpgm
	.section	.rodata,"a",@progbits
	.p2align	6, 0x0
	.amdhsa_kernel fft_rtc_fwd_len3750_factors_3_5_5_10_5_wgs_125_tpt_125_halfLds_dp_ip_CI_unitstride_sbrr_C2R_dirReg
		.amdhsa_group_segment_fixed_size 0
		.amdhsa_private_segment_fixed_size 0
		.amdhsa_kernarg_size 88
		.amdhsa_user_sgpr_count 6
		.amdhsa_user_sgpr_private_segment_buffer 1
		.amdhsa_user_sgpr_dispatch_ptr 0
		.amdhsa_user_sgpr_queue_ptr 0
		.amdhsa_user_sgpr_kernarg_segment_ptr 1
		.amdhsa_user_sgpr_dispatch_id 0
		.amdhsa_user_sgpr_flat_scratch_init 0
		.amdhsa_user_sgpr_private_segment_size 0
		.amdhsa_uses_dynamic_stack 0
		.amdhsa_system_sgpr_private_segment_wavefront_offset 0
		.amdhsa_system_sgpr_workgroup_id_x 1
		.amdhsa_system_sgpr_workgroup_id_y 0
		.amdhsa_system_sgpr_workgroup_id_z 0
		.amdhsa_system_sgpr_workgroup_info 0
		.amdhsa_system_vgpr_workitem_id 0
		.amdhsa_next_free_vgpr 226
		.amdhsa_next_free_sgpr 22
		.amdhsa_reserve_vcc 1
		.amdhsa_reserve_flat_scratch 0
		.amdhsa_float_round_mode_32 0
		.amdhsa_float_round_mode_16_64 0
		.amdhsa_float_denorm_mode_32 3
		.amdhsa_float_denorm_mode_16_64 3
		.amdhsa_dx10_clamp 1
		.amdhsa_ieee_mode 1
		.amdhsa_fp16_overflow 0
		.amdhsa_exception_fp_ieee_invalid_op 0
		.amdhsa_exception_fp_denorm_src 0
		.amdhsa_exception_fp_ieee_div_zero 0
		.amdhsa_exception_fp_ieee_overflow 0
		.amdhsa_exception_fp_ieee_underflow 0
		.amdhsa_exception_fp_ieee_inexact 0
		.amdhsa_exception_int_div_zero 0
	.end_amdhsa_kernel
	.text
.Lfunc_end0:
	.size	fft_rtc_fwd_len3750_factors_3_5_5_10_5_wgs_125_tpt_125_halfLds_dp_ip_CI_unitstride_sbrr_C2R_dirReg, .Lfunc_end0-fft_rtc_fwd_len3750_factors_3_5_5_10_5_wgs_125_tpt_125_halfLds_dp_ip_CI_unitstride_sbrr_C2R_dirReg
                                        ; -- End function
	.section	.AMDGPU.csdata,"",@progbits
; Kernel info:
; codeLenInByte = 26744
; NumSgprs: 26
; NumVgprs: 226
; ScratchSize: 0
; MemoryBound: 0
; FloatMode: 240
; IeeeMode: 1
; LDSByteSize: 0 bytes/workgroup (compile time only)
; SGPRBlocks: 3
; VGPRBlocks: 56
; NumSGPRsForWavesPerEU: 26
; NumVGPRsForWavesPerEU: 226
; Occupancy: 1
; WaveLimiterHint : 1
; COMPUTE_PGM_RSRC2:SCRATCH_EN: 0
; COMPUTE_PGM_RSRC2:USER_SGPR: 6
; COMPUTE_PGM_RSRC2:TRAP_HANDLER: 0
; COMPUTE_PGM_RSRC2:TGID_X_EN: 1
; COMPUTE_PGM_RSRC2:TGID_Y_EN: 0
; COMPUTE_PGM_RSRC2:TGID_Z_EN: 0
; COMPUTE_PGM_RSRC2:TIDIG_COMP_CNT: 0
	.type	__hip_cuid_4ce13e273215511a,@object ; @__hip_cuid_4ce13e273215511a
	.section	.bss,"aw",@nobits
	.globl	__hip_cuid_4ce13e273215511a
__hip_cuid_4ce13e273215511a:
	.byte	0                               ; 0x0
	.size	__hip_cuid_4ce13e273215511a, 1

	.ident	"AMD clang version 19.0.0git (https://github.com/RadeonOpenCompute/llvm-project roc-6.4.0 25133 c7fe45cf4b819c5991fe208aaa96edf142730f1d)"
	.section	".note.GNU-stack","",@progbits
	.addrsig
	.addrsig_sym __hip_cuid_4ce13e273215511a
	.amdgpu_metadata
---
amdhsa.kernels:
  - .args:
      - .actual_access:  read_only
        .address_space:  global
        .offset:         0
        .size:           8
        .value_kind:     global_buffer
      - .offset:         8
        .size:           8
        .value_kind:     by_value
      - .actual_access:  read_only
        .address_space:  global
        .offset:         16
        .size:           8
        .value_kind:     global_buffer
      - .actual_access:  read_only
        .address_space:  global
        .offset:         24
        .size:           8
        .value_kind:     global_buffer
      - .offset:         32
        .size:           8
        .value_kind:     by_value
      - .actual_access:  read_only
        .address_space:  global
        .offset:         40
        .size:           8
        .value_kind:     global_buffer
      - .actual_access:  read_only
        .address_space:  global
        .offset:         48
        .size:           8
        .value_kind:     global_buffer
      - .offset:         56
        .size:           4
        .value_kind:     by_value
      - .actual_access:  read_only
        .address_space:  global
        .offset:         64
        .size:           8
        .value_kind:     global_buffer
      - .actual_access:  read_only
        .address_space:  global
        .offset:         72
        .size:           8
        .value_kind:     global_buffer
      - .address_space:  global
        .offset:         80
        .size:           8
        .value_kind:     global_buffer
    .group_segment_fixed_size: 0
    .kernarg_segment_align: 8
    .kernarg_segment_size: 88
    .language:       OpenCL C
    .language_version:
      - 2
      - 0
    .max_flat_workgroup_size: 125
    .name:           fft_rtc_fwd_len3750_factors_3_5_5_10_5_wgs_125_tpt_125_halfLds_dp_ip_CI_unitstride_sbrr_C2R_dirReg
    .private_segment_fixed_size: 0
    .sgpr_count:     26
    .sgpr_spill_count: 0
    .symbol:         fft_rtc_fwd_len3750_factors_3_5_5_10_5_wgs_125_tpt_125_halfLds_dp_ip_CI_unitstride_sbrr_C2R_dirReg.kd
    .uniform_work_group_size: 1
    .uses_dynamic_stack: false
    .vgpr_count:     226
    .vgpr_spill_count: 0
    .wavefront_size: 64
amdhsa.target:   amdgcn-amd-amdhsa--gfx906
amdhsa.version:
  - 1
  - 2
...

	.end_amdgpu_metadata
